;; amdgpu-corpus repo=ROCm/aiter kind=harvested arch=n/a opt=n/a

/root/src/amdgpu-assembly/repos/ROCm__aiter/hsa/gfx950/pa/pa_bf16_perblockFp8_blk256_1tg_4w_qlen48_msk1_ps.co:	file format elf64-amdgpu

Disassembly of section .text:

0000000000002600 <_ZN5aiter44PA_A16W8_BLK256_1TG_4W_48mx1_64nx4_MTP_PS_PBE>:
	s_and_b32 s1, s1, 0xffff                                   // 000000002600: 8601FF01 0000FFFF
	s_load_dwordx2 s[4:5], s[0:1], 0x0                         // 000000002608: C0060100 00000000
	s_load_dwordx2 s[8:9], s[0:1], 0x10                        // 000000002610: C0060200 00000010
	s_load_dwordx2 s[12:13], s[0:1], 0x20                      // 000000002618: C0060300 00000020
	s_load_dwordx2 s[16:17], s[0:1], 0x30                      // 000000002620: C0060400 00000030
	s_load_dwordx2 s[42:43], s[0:1], 0x40                      // 000000002628: C0060A80 00000040
	s_load_dwordx2 s[40:41], s[0:1], 0x50                      // 000000002630: C0060A00 00000050
	s_load_dwordx2 s[20:21], s[0:1], 0x60                      // 000000002638: C0060500 00000060
	s_load_dwordx2 s[24:25], s[0:1], 0x70                      // 000000002640: C0060600 00000070
	s_load_dword s46, s[0:1], 0x80                             // 000000002648: C0020B80 00000080
	s_load_dword s48, s[0:1], 0x90                             // 000000002650: C0020C00 00000090
	s_load_dword s49, s[0:1], 0xa0                             // 000000002658: C0020C40 000000A0
	s_load_dword s50, s[0:1], 0xb0                             // 000000002660: C0020C80 000000B0
	s_load_dword s51, s[0:1], 0xc0                             // 000000002668: C0020CC0 000000C0
	s_load_dword s52, s[0:1], 0xd0                             // 000000002670: C0020D00 000000D0
	s_load_dword s53, s[0:1], 0xe0                             // 000000002678: C0020D40 000000E0
	s_load_dwordx2 s[44:45], s[0:1], 0x100                     // 000000002680: C0060B00 00000100
	s_load_dwordx2 s[36:37], s[0:1], 0x110                     // 000000002688: C0060900 00000110
	s_load_dwordx2 s[38:39], s[0:1], 0x120                     // 000000002690: C0060980 00000120
	s_load_dwordx2 s[28:29], s[0:1], 0x130                     // 000000002698: C0060700 00000130
	s_load_dwordx2 s[32:33], s[0:1], 0x140                     // 0000000026A0: C0060800 00000140
	v_lshrrev_b32_e32 v1, 10, v0                               // 0000000026A8: 2002008A
	v_lshrrev_b32_e32 v2, 10, v1                               // 0000000026AC: 2004028A
	v_and_b32_e32 v2, 0x3ff, v2                                // 0000000026B0: 260404FF 000003FF
	v_and_b32_e32 v1, 0x3ff, v1                                // 0000000026B8: 260202FF 000003FF
	v_and_b32_e32 v0, 0x3ff, v0                                // 0000000026C0: 260000FF 000003FF
	v_lshrrev_b32_e32 v3, 6, v0                                // 0000000026C8: 20060086
	v_and_b32_e32 v0, 63, v0                                   // 0000000026CC: 260000BF
	s_mov_b32 s58, s2                                          // 0000000026D0: BEBA0002
	v_readfirstlane_b32 s57, v3                                // 0000000026D4: 7E720503
	s_mov_b32 s56, 0x7060302                                   // 0000000026D8: BEB800FF 07060302
	v_mov_b32_e32 v215, 0xffff0000                             // 0000000026E0: 7FAE02FF FFFF0000
	v_mov_b32_e32 v216, 0x7fff0000                             // 0000000026E8: 7FB002FF 7FFF0000
	v_mov_b32_e32 v217, 0x7fff                                 // 0000000026F0: 7FB202FF 00007FFF
	v_mov_b32_e32 v222, 0xff800000                             // 0000000026F8: 7FBC02FF FF800000
	v_lshrrev_b32_e32 v204, 4, v0                              // 000000002700: 21980084
	v_and_b32_e32 v205, 15, v0                                 // 000000002704: 279A008F
	v_add_u32_e32 v206, 1, v204                                // 000000002708: 699D9881
	v_and_b32_e32 v208, 3, v206                                // 00000000270C: 27A19C83
	v_lshlrev_b32_e32 v208, 4, v208                            // 000000002710: 25A1A084
	v_add_u32_e32 v208, v205, v208                             // 000000002714: 69A1A1CD
	v_lshlrev_b32_e32 v208, 2, v208                            // 000000002718: 25A1A082
	v_add_u32_e32 v206, 2, v204                                // 00000000271C: 699D9882
	v_and_b32_e32 v209, 3, v206                                // 000000002720: 27A39C83
	v_lshlrev_b32_e32 v209, 4, v209                            // 000000002724: 25A3A284
	v_add_u32_e32 v209, v205, v209                             // 000000002728: 69A3A3CD
	v_lshlrev_b32_e32 v209, 2, v209                            // 00000000272C: 25A3A282
	v_add_u32_e32 v206, 3, v204                                // 000000002730: 699D9883
	v_and_b32_e32 v210, 3, v206                                // 000000002734: 27A59C83
	v_lshlrev_b32_e32 v210, 4, v210                            // 000000002738: 25A5A484
	v_add_u32_e32 v210, v205, v210                             // 00000000273C: 69A5A5CD
	v_lshlrev_b32_e32 v210, 2, v210                            // 000000002740: 25A5A482
	s_waitcnt lgkmcnt(0)                                       // 000000002744: BF8CC07F
	s_lshl_b32 s54, s58, 2                                     // 000000002748: 8E36823A
	s_and_b32 s37, s37, 0xffff                                 // 00000000274C: 8625FF25 0000FFFF
	s_load_dwordx2 s[80:81], s[36:37], s54                     // 000000002754: C0041412 00000036
	s_mul_i32 s54, s53, 0x100                                  // 00000000275C: 9236FF35 00000100
	s_mul_i32 s67, s48, s54                                    // 000000002764: 92433630
	s_mul_i32 s66, s48, 4                                      // 000000002768: 92428430
	s_mov_b32 s47, s46                                         // 00000000276C: BEAF002E
	s_mov_b32 s10, 0x80000000                                  // 000000002770: BE8A00FF 80000000
	s_mov_b32 s11, 0x20000                                     // 000000002778: BE8B00FF 00020000
	s_and_b32 s9, s9, 0xffff                                   // 000000002780: 8609FF09 0000FFFF
	s_or_b32 s9, s9, 0                                         // 000000002788: 87098009
	s_mov_b32 s84, s8                                          // 00000000278C: BED40008
	s_mov_b32 s85, s9                                          // 000000002790: BED50009
	s_mov_b32 s6, 0x80000000                                   // 000000002794: BE8600FF 80000000
	s_mov_b32 s7, 0x20000                                      // 00000000279C: BE8700FF 00020000
	s_and_b32 s5, s5, 0xffff                                   // 0000000027A4: 8605FF05 0000FFFF
	s_or_b32 s5, s5, 0                                         // 0000000027AC: 87058005
	s_mov_b32 s82, s4                                          // 0000000027B0: BED20004
	s_mov_b32 s83, s5                                          // 0000000027B4: BED30005
	s_mov_b32 s30, 0x80000000                                  // 0000000027B8: BE9E00FF 80000000
	s_mov_b32 s31, 0x20000                                     // 0000000027C0: BE9F00FF 00020000
	s_and_b32 s29, s29, 0xffff                                 // 0000000027C8: 861DFF1D 0000FFFF
	s_or_b32 s29, s29, 0                                       // 0000000027D0: 871D801D
	s_mov_b32 s94, s28                                         // 0000000027D4: BEDE001C
	s_mov_b32 s95, s29                                         // 0000000027D8: BEDF001D
	s_mov_b32 s34, 0x80000000                                  // 0000000027DC: BEA200FF 80000000
	s_mov_b32 s35, 0x20000                                     // 0000000027E4: BEA300FF 00020000
	s_and_b32 s33, s33, 0xffff                                 // 0000000027EC: 8621FF21 0000FFFF
	s_or_b32 s33, s33, 0                                       // 0000000027F4: 87218021
	s_mov_b32 s96, s32                                         // 0000000027F8: BEE00020
	s_mov_b32 s97, s33                                         // 0000000027FC: BEE10021
	s_mov_b32 s14, 0x80000000                                  // 000000002800: BE8E00FF 80000000
	s_mov_b32 s15, 0x20000                                     // 000000002808: BE8F00FF 00020000
	s_and_b32 s13, s13, 0xffff                                 // 000000002810: 860DFF0D 0000FFFF
	s_or_b32 s13, s13, 0                                       // 000000002818: 870D800D
	s_mul_i32 s55, s57, 0x100                                  // 00000000281C: 9237FF39 00000100
	s_add_u32 s86, s12, s55                                    // 000000002824: 8056370C
	s_addc_u32 s87, s13, 0                                     // 000000002828: 8257800D
	s_mov_b32 s18, 0x80000000                                  // 00000000282C: BE9200FF 80000000
	s_mov_b32 s19, 0x20000                                     // 000000002834: BE9300FF 00020000
	s_and_b32 s17, s17, 0xffff                                 // 00000000283C: 8611FF11 0000FFFF
	s_or_b32 s17, s17, 0                                       // 000000002844: 87118011
	s_add_u32 s88, s16, s55                                    // 000000002848: 80583710
	s_addc_u32 s89, s17, 0                                     // 00000000284C: 82598011
	s_mov_b32 s22, 0x80000000                                  // 000000002850: BE9600FF 80000000
	s_mov_b32 s23, 0x20000                                     // 000000002858: BE9700FF 00020000
	s_and_b32 s21, s21, 0xffff                                 // 000000002860: 8615FF15 0000FFFF
	s_or_b32 s21, s21, 0                                       // 000000002868: 87158015
	s_add_u32 s90, s20, 0                                      // 00000000286C: 805A8014
	s_addc_u32 s91, s21, 0                                     // 000000002870: 825B8015
	s_mov_b32 s26, 0x80000000                                  // 000000002874: BE9A00FF 80000000
	s_mov_b32 s27, 0x20000                                     // 00000000287C: BE9B00FF 00020000
	s_and_b32 s25, s25, 0xffff                                 // 000000002884: 8619FF19 0000FFFF
	s_or_b32 s25, s25, 0                                       // 00000000288C: 87198019
	s_add_u32 s92, s24, 0                                      // 000000002890: 805C8018
	s_addc_u32 s93, s25, 0                                     // 000000002894: 825D8019
	s_and_b32 s39, s39, 0xffff                                 // 000000002898: 8627FF27 0000FFFF
	s_and_b32 s41, s41, 0xffff                                 // 0000000028A0: 8629FF29 0000FFFF
	s_and_b32 s43, s43, 0xffff                                 // 0000000028A8: 862BFF2B 0000FFFF
	s_and_b32 s45, s45, 0xffff                                 // 0000000028B0: 862DFF2D 0000FFFF
	v_and_b32_e32 v196, 15, v0                                 // 0000000028B8: 2788008F
	v_lshlrev_b32_e32 v196, 4, v196                            // 0000000028BC: 25898884
	s_lshl_b32 s54, s57, 2                                     // 0000000028C0: 8E368239
	v_lshrrev_b32_e32 v188, 4, v0                              // 0000000028C4: 21780084
	v_add_u32_e32 v188, s54, v188                              // 0000000028C8: 69797836
	v_add_u32_e32 v189, 16, v188                               // 0000000028CC: 697B7890
	v_add_u32_e32 v190, 16, v189                               // 0000000028D0: 697D7A90
	v_cvt_f32_u32_e32 v204, s53                                // 0000000028D4: 7F980C35
	v_sub_i32 v192, 0, s53                                     // 0000000028D8: D29D00C0 00006A80
	v_rcp_iflag_f32_e32 v204, v204                             // 0000000028E0: 7F9847CC
	s_nop 0                                                    // 0000000028E4: BF800000
	v_mul_f32_e32 v204, 0x4f7ffffe, v204                       // 0000000028E8: 0B9998FF 4F7FFFFE
	v_cvt_u32_f32_e32 v204, v204                               // 0000000028F0: 7F980FCC
	v_mul_lo_u32 v205, v192, v204                              // 0000000028F4: D28500CD 000399C0
	v_mul_hi_u32 v205, v204, v205                              // 0000000028FC: D28600CD 00039BCC
	v_add_u32_e32 v204, v204, v205                             // 000000002904: 69999BCC
	v_mul_hi_u32 v204, v188, v204                              // 000000002908: D28600CC 000399BC
	v_mul_lo_u32 v205, v204, s53                               // 000000002910: D28500CD 00006BCC
	v_sub_u32_e32 v207, v188, v205                             // 000000002918: 6B9F9BBC
	v_add_u32_e32 v206, 1, v204                                // 00000000291C: 699D9881
	v_cmp_le_u32_e32 vcc, s53, v207                            // 000000002920: 7D979E35
	v_subrev_u32_e32 v205, s53, v207                           // 000000002924: 6D9B9E35
	s_nop 0                                                    // 000000002928: BF800000
	v_cndmask_b32_e32 v204, v204, v206, vcc                    // 00000000292C: 01999DCC
	v_cndmask_b32_e32 v207, v207, v205, vcc                    // 000000002930: 019F9BCF
	v_add_u32_e32 v205, 1, v204                                // 000000002934: 699B9881
	v_cmp_le_u32_e32 vcc, s53, v207                            // 000000002938: 7D979E35
	s_nop 1                                                    // 00000000293C: BF800001
	v_cndmask_b32_e32 v192, v204, v205, vcc                    // 000000002940: 01819BCC
	v_mul_i32_i24_e32 v206, s53, v192                          // 000000002944: 0D9D8035
	v_sub_u32_e32 v206, v188, v206                             // 000000002948: 6B9D9DBC
	v_mul_u32_u24_e32 v206, 0x100, v206                        // 00000000294C: 119D9CFF 00000100
	v_mul_u32_u24_e32 v223, s49, v192                          // 000000002954: 11BF8031
	v_add3_u32 v223, v206, v223, v196                          // 000000002958: D1FF00DF 0713BFCE
	v_mul_u32_u24_e32 v226, s67, v192                          // 000000002960: 11C58043
	v_add3_u32 v226, v206, v226, v196                          // 000000002964: D1FF00E2 0713C5CE
	v_cvt_f32_u32_e32 v204, s53                                // 00000000296C: 7F980C35
	v_sub_i32 v192, 0, s53                                     // 000000002970: D29D00C0 00006A80
	v_rcp_iflag_f32_e32 v204, v204                             // 000000002978: 7F9847CC
	s_nop 0                                                    // 00000000297C: BF800000
	v_mul_f32_e32 v204, 0x4f7ffffe, v204                       // 000000002980: 0B9998FF 4F7FFFFE
	v_cvt_u32_f32_e32 v204, v204                               // 000000002988: 7F980FCC
	v_mul_lo_u32 v205, v192, v204                              // 00000000298C: D28500CD 000399C0
	v_mul_hi_u32 v205, v204, v205                              // 000000002994: D28600CD 00039BCC
	v_add_u32_e32 v204, v204, v205                             // 00000000299C: 69999BCC
	v_mul_hi_u32 v204, v189, v204                              // 0000000029A0: D28600CC 000399BD
	v_mul_lo_u32 v205, v204, s53                               // 0000000029A8: D28500CD 00006BCC
	v_sub_u32_e32 v207, v189, v205                             // 0000000029B0: 6B9F9BBD
	v_add_u32_e32 v206, 1, v204                                // 0000000029B4: 699D9881
	v_cmp_le_u32_e32 vcc, s53, v207                            // 0000000029B8: 7D979E35
	v_subrev_u32_e32 v205, s53, v207                           // 0000000029BC: 6D9B9E35
	s_nop 0                                                    // 0000000029C0: BF800000
	v_cndmask_b32_e32 v204, v204, v206, vcc                    // 0000000029C4: 01999DCC
	v_cndmask_b32_e32 v207, v207, v205, vcc                    // 0000000029C8: 019F9BCF
	v_add_u32_e32 v205, 1, v204                                // 0000000029CC: 699B9881
	v_cmp_le_u32_e32 vcc, s53, v207                            // 0000000029D0: 7D979E35
	s_nop 1                                                    // 0000000029D4: BF800001
	v_cndmask_b32_e32 v192, v204, v205, vcc                    // 0000000029D8: 01819BCC
	v_mul_i32_i24_e32 v206, s53, v192                          // 0000000029DC: 0D9D8035
	v_sub_u32_e32 v206, v189, v206                             // 0000000029E0: 6B9D9DBD
	v_mul_u32_u24_e32 v206, 0x100, v206                        // 0000000029E4: 119D9CFF 00000100
	v_mul_u32_u24_e32 v224, s49, v192                          // 0000000029EC: 11C18031
	v_add3_u32 v224, v206, v224, v196                          // 0000000029F0: D1FF00E0 0713C1CE
	v_mul_u32_u24_e32 v227, s67, v192                          // 0000000029F8: 11C78043
	v_add3_u32 v227, v206, v227, v196                          // 0000000029FC: D1FF00E3 0713C7CE
	v_cvt_f32_u32_e32 v204, s53                                // 000000002A04: 7F980C35
	v_sub_i32 v192, 0, s53                                     // 000000002A08: D29D00C0 00006A80
	v_rcp_iflag_f32_e32 v204, v204                             // 000000002A10: 7F9847CC
	s_nop 0                                                    // 000000002A14: BF800000
	v_mul_f32_e32 v204, 0x4f7ffffe, v204                       // 000000002A18: 0B9998FF 4F7FFFFE
	v_cvt_u32_f32_e32 v204, v204                               // 000000002A20: 7F980FCC
	v_mul_lo_u32 v205, v192, v204                              // 000000002A24: D28500CD 000399C0
	v_mul_hi_u32 v205, v204, v205                              // 000000002A2C: D28600CD 00039BCC
	v_add_u32_e32 v204, v204, v205                             // 000000002A34: 69999BCC
	v_mul_hi_u32 v204, v190, v204                              // 000000002A38: D28600CC 000399BE
	v_mul_lo_u32 v205, v204, s53                               // 000000002A40: D28500CD 00006BCC
	v_sub_u32_e32 v207, v190, v205                             // 000000002A48: 6B9F9BBE
	v_add_u32_e32 v206, 1, v204                                // 000000002A4C: 699D9881
	v_cmp_le_u32_e32 vcc, s53, v207                            // 000000002A50: 7D979E35
	v_subrev_u32_e32 v205, s53, v207                           // 000000002A54: 6D9B9E35
	s_nop 0                                                    // 000000002A58: BF800000
	v_cndmask_b32_e32 v204, v204, v206, vcc                    // 000000002A5C: 01999DCC
	v_cndmask_b32_e32 v207, v207, v205, vcc                    // 000000002A60: 019F9BCF
	v_add_u32_e32 v205, 1, v204                                // 000000002A64: 699B9881
	v_cmp_le_u32_e32 vcc, s53, v207                            // 000000002A68: 7D979E35
	s_nop 1                                                    // 000000002A6C: BF800001
	v_cndmask_b32_e32 v192, v204, v205, vcc                    // 000000002A70: 01819BCC
	v_mul_i32_i24_e32 v206, s53, v192                          // 000000002A74: 0D9D8035
	v_sub_u32_e32 v206, v190, v206                             // 000000002A78: 6B9D9DBE
	v_mul_u32_u24_e32 v206, 0x100, v206                        // 000000002A7C: 119D9CFF 00000100
	v_mul_u32_u24_e32 v225, s49, v192                          // 000000002A84: 11C38031
	v_add3_u32 v225, v206, v225, v196                          // 000000002A88: D1FF00E1 0713C3CE
	v_mul_u32_u24_e32 v228, s67, v192                          // 000000002A90: 11C98043
	v_add3_u32 v228, v206, v228, v196                          // 000000002A94: D1FF00E4 0713C9CE
	s_lshl_b32 s54, s57, 6                                     // 000000002A9C: 8E368639
	v_lshrrev_b32_e32 v196, 4, v0                              // 000000002AA0: 21880084
	v_lshlrev_b32_e32 v196, 4, v196                            // 000000002AA4: 25898884
	v_add_u32_e32 v196, s54, v196                              // 000000002AA8: 69898836
	v_and_b32_e32 v188, 15, v0                                 // 000000002AAC: 2778008F
	v_add_u32_e64 v189, v188, 16                               // 000000002AB0: D13400BD 000121BC
	v_add_u32_e64 v190, v188, 32                               // 000000002AB8: D13400BE 000141BC
	s_mul_i32 s54, s48, s53                                    // 000000002AC0: 92363530
	s_lshl_b32 s54, s54, 2                                     // 000000002AC4: 8E368236
	s_mul_i32 s55, s54, 0x80                                   // 000000002AC8: 9237FF36 00000080
	v_cvt_f32_u32_e32 v204, s53                                // 000000002AD0: 7F980C35
	v_sub_i32 v192, 0, s53                                     // 000000002AD4: D29D00C0 00006A80
	v_rcp_iflag_f32_e32 v204, v204                             // 000000002ADC: 7F9847CC
	s_nop 0                                                    // 000000002AE0: BF800000
	v_mul_f32_e32 v204, 0x4f7ffffe, v204                       // 000000002AE4: 0B9998FF 4F7FFFFE
	v_cvt_u32_f32_e32 v204, v204                               // 000000002AEC: 7F980FCC
	v_mul_lo_u32 v205, v192, v204                              // 000000002AF0: D28500CD 000399C0
	v_mul_hi_u32 v205, v204, v205                              // 000000002AF8: D28600CD 00039BCC
	v_add_u32_e32 v204, v204, v205                             // 000000002B00: 69999BCC
	v_mul_hi_u32 v204, v188, v204                              // 000000002B04: D28600CC 000399BC
	v_mul_lo_u32 v205, v204, s53                               // 000000002B0C: D28500CD 00006BCC
	v_sub_u32_e32 v207, v188, v205                             // 000000002B14: 6B9F9BBC
	v_add_u32_e32 v206, 1, v204                                // 000000002B18: 699D9881
	v_cmp_le_u32_e32 vcc, s53, v207                            // 000000002B1C: 7D979E35
	v_subrev_u32_e32 v205, s53, v207                           // 000000002B20: 6D9B9E35
	s_nop 0                                                    // 000000002B24: BF800000
	v_cndmask_b32_e32 v204, v204, v206, vcc                    // 000000002B28: 01999DCC
	v_cndmask_b32_e32 v207, v207, v205, vcc                    // 000000002B2C: 019F9BCF
	v_add_u32_e32 v205, 1, v204                                // 000000002B30: 699B9881
	v_cmp_le_u32_e32 vcc, s53, v207                            // 000000002B34: 7D979E35
	s_nop 1                                                    // 000000002B38: BF800001
	v_cndmask_b32_e32 v192, v204, v205, vcc                    // 000000002B3C: 01819BCC
	v_mul_i32_i24_e32 v206, s53, v192                          // 000000002B40: 0D9D8035
	v_sub_u32_e32 v206, v188, v206                             // 000000002B44: 6B9D9DBC
	v_lshlrev_b32_e32 v207, 2, v206                            // 000000002B48: 259F9C82
	v_mul_u32_u24_e32 v237, s54, v192                          // 000000002B4C: 11DB8036
	v_add_u32_e32 v237, v207, v237                             // 000000002B50: 69DBDBCF
	v_mul_u32_u24_e32 v207, 0x200, v206                        // 000000002B54: 119F9CFF 00000200
	v_mul_u32_u24_e32 v240, s55, v192                          // 000000002B5C: 11E18037
	v_add3_u32 v240, v207, v240, v196                          // 000000002B60: D1FF00F0 0713E1CF
	v_cvt_f32_u32_e32 v204, s53                                // 000000002B68: 7F980C35
	v_sub_i32 v192, 0, s53                                     // 000000002B6C: D29D00C0 00006A80
	v_rcp_iflag_f32_e32 v204, v204                             // 000000002B74: 7F9847CC
	s_nop 0                                                    // 000000002B78: BF800000
	v_mul_f32_e32 v204, 0x4f7ffffe, v204                       // 000000002B7C: 0B9998FF 4F7FFFFE
	v_cvt_u32_f32_e32 v204, v204                               // 000000002B84: 7F980FCC
	v_mul_lo_u32 v205, v192, v204                              // 000000002B88: D28500CD 000399C0
	v_mul_hi_u32 v205, v204, v205                              // 000000002B90: D28600CD 00039BCC
	v_add_u32_e32 v204, v204, v205                             // 000000002B98: 69999BCC
	v_mul_hi_u32 v204, v189, v204                              // 000000002B9C: D28600CC 000399BD
	v_mul_lo_u32 v205, v204, s53                               // 000000002BA4: D28500CD 00006BCC
	v_sub_u32_e32 v207, v189, v205                             // 000000002BAC: 6B9F9BBD
	v_add_u32_e32 v206, 1, v204                                // 000000002BB0: 699D9881
	v_cmp_le_u32_e32 vcc, s53, v207                            // 000000002BB4: 7D979E35
	v_subrev_u32_e32 v205, s53, v207                           // 000000002BB8: 6D9B9E35
	s_nop 0                                                    // 000000002BBC: BF800000
	v_cndmask_b32_e32 v204, v204, v206, vcc                    // 000000002BC0: 01999DCC
	v_cndmask_b32_e32 v207, v207, v205, vcc                    // 000000002BC4: 019F9BCF
	v_add_u32_e32 v205, 1, v204                                // 000000002BC8: 699B9881
	v_cmp_le_u32_e32 vcc, s53, v207                            // 000000002BCC: 7D979E35
	s_nop 1                                                    // 000000002BD0: BF800001
	v_cndmask_b32_e32 v192, v204, v205, vcc                    // 000000002BD4: 01819BCC
	v_mul_i32_i24_e32 v206, s53, v192                          // 000000002BD8: 0D9D8035
	v_sub_u32_e32 v206, v189, v206                             // 000000002BDC: 6B9D9DBD
	v_lshlrev_b32_e32 v207, 2, v206                            // 000000002BE0: 259F9C82
	v_mul_u32_u24_e32 v238, s54, v192                          // 000000002BE4: 11DD8036
	v_add_u32_e32 v238, v207, v238                             // 000000002BE8: 69DDDDCF
	v_mul_u32_u24_e32 v207, 0x200, v206                        // 000000002BEC: 119F9CFF 00000200
	v_mul_u32_u24_e32 v241, s55, v192                          // 000000002BF4: 11E38037
	v_add3_u32 v241, v207, v241, v196                          // 000000002BF8: D1FF00F1 0713E3CF
	v_cvt_f32_u32_e32 v204, s53                                // 000000002C00: 7F980C35
	v_sub_i32 v192, 0, s53                                     // 000000002C04: D29D00C0 00006A80
	v_rcp_iflag_f32_e32 v204, v204                             // 000000002C0C: 7F9847CC
	s_nop 0                                                    // 000000002C10: BF800000
	v_mul_f32_e32 v204, 0x4f7ffffe, v204                       // 000000002C14: 0B9998FF 4F7FFFFE
	v_cvt_u32_f32_e32 v204, v204                               // 000000002C1C: 7F980FCC
	v_mul_lo_u32 v205, v192, v204                              // 000000002C20: D28500CD 000399C0
	v_mul_hi_u32 v205, v204, v205                              // 000000002C28: D28600CD 00039BCC
	v_add_u32_e32 v204, v204, v205                             // 000000002C30: 69999BCC
	v_mul_hi_u32 v204, v190, v204                              // 000000002C34: D28600CC 000399BE
	v_mul_lo_u32 v205, v204, s53                               // 000000002C3C: D28500CD 00006BCC
	v_sub_u32_e32 v207, v190, v205                             // 000000002C44: 6B9F9BBE
	v_add_u32_e32 v206, 1, v204                                // 000000002C48: 699D9881
	v_cmp_le_u32_e32 vcc, s53, v207                            // 000000002C4C: 7D979E35
	v_subrev_u32_e32 v205, s53, v207                           // 000000002C50: 6D9B9E35
	s_nop 0                                                    // 000000002C54: BF800000
	v_cndmask_b32_e32 v204, v204, v206, vcc                    // 000000002C58: 01999DCC
	v_cndmask_b32_e32 v207, v207, v205, vcc                    // 000000002C5C: 019F9BCF
	v_add_u32_e32 v205, 1, v204                                // 000000002C60: 699B9881
	v_cmp_le_u32_e32 vcc, s53, v207                            // 000000002C64: 7D979E35
	s_nop 1                                                    // 000000002C68: BF800001
	v_cndmask_b32_e32 v192, v204, v205, vcc                    // 000000002C6C: 01819BCC
	v_mul_i32_i24_e32 v206, s53, v192                          // 000000002C70: 0D9D8035
	v_sub_u32_e32 v206, v190, v206                             // 000000002C74: 6B9D9DBE
	v_lshlrev_b32_e32 v207, 2, v206                            // 000000002C78: 259F9C82
	v_mul_u32_u24_e32 v239, s54, v192                          // 000000002C7C: 11DF8036
	v_add_u32_e32 v239, v207, v239                             // 000000002C80: 69DFDFCF
	v_mul_u32_u24_e32 v207, 0x200, v206                        // 000000002C84: 119F9CFF 00000200
	v_mul_u32_u24_e32 v242, s55, v192                          // 000000002C8C: 11E58037
	v_add3_u32 v242, v207, v242, v196                          // 000000002C90: D1FF00F2 0713E5CF
	s_mul_i32 s54, s57, 64                                     // 000000002C98: 9236C039
	v_and_b32_e32 v204, 15, v0                                 // 000000002C9C: 2798008F
	v_mul_i32_i24_e32 v204, 0x100, v204                        // 000000002CA0: 0D9998FF 00000100
	v_lshrrev_b32_e32 v205, 4, v0                              // 000000002CA8: 219A0084
	v_mul_i32_i24_e32 v205, 16, v205                           // 000000002CAC: 0D9B9A90
	v_add3_u32 v243, v204, v205, s54                           // 000000002CB0: D1FF00F3 00DB9BCC
	v_and_b32_e32 v245, 15, v0                                 // 000000002CB8: 27EA008F
	v_mul_i32_i24_e32 v245, 16, v245                           // 000000002CBC: 0DEBEA90
	s_mul_i32 s54, s57, 0x240                                  // 000000002CC0: 9236FF39 00000240
	v_lshrrev_b32_e32 v204, 4, v0                              // 000000002CC8: 21980084
	v_lshlrev_b32_e32 v204, 7, v204                            // 000000002CCC: 25999887
	v_lshrrev_b32_e32 v205, 5, v0                              // 000000002CD0: 219A0085
	v_lshlrev_b32_e32 v205, 5, v205                            // 000000002CD4: 259B9A85
	v_and_b32_e32 v206, 15, v0                                 // 000000002CD8: 279C008F
	v_lshlrev_b32_e32 v206, 3, v206                            // 000000002CDC: 259D9C83
	v_add3_u32 v204, v204, v205, v206                          // 000000002CE0: D1FF00CC 073B9BCC
	v_add_u32_e32 v244, s54, v204                              // 000000002CE8: 69E99836
	v_and_b32_e32 v204, 15, v0                                 // 000000002CEC: 2798008F
	v_lshlrev_b32_e32 v205, 7, v204                            // 000000002CF0: 259B9887
	v_lshrrev_b32_e32 v204, 1, v204                            // 000000002CF4: 21999881
	v_lshlrev_b32_e32 v204, 5, v204                            // 000000002CF8: 25999885
	v_lshrrev_b32_e32 v206, 4, v0                              // 000000002CFC: 219C0084
	v_lshlrev_b32_e32 v206, 4, v206                            // 000000002D00: 259D9C84
	v_add3_u32 v246, v204, v205, v206                          // 000000002D04: D1FF00F6 073B9BCC
	s_mul_i32 s54, s57, 0x240                                  // 000000002D0C: 9236FF39 00000240
	v_lshrrev_b32_e32 v204, 5, v0                              // 000000002D14: 21980085
	v_mul_i32_i24_e32 v204, 0x120, v204                        // 000000002D18: 0D9998FF 00000120
	v_lshrrev_b32_e32 v205, 4, v0                              // 000000002D20: 219A0084
	v_and_b32_e32 v205, 1, v205                                // 000000002D24: 279B9A81
	v_lshlrev_b32_e32 v205, 3, v205                            // 000000002D28: 259B9A83
	v_and_b32_e32 v206, 15, v0                                 // 000000002D2C: 279C008F
	v_lshlrev_b32_e32 v206, 4, v206                            // 000000002D30: 259D9C84
	v_add3_u32 v247, v204, v205, v206                          // 000000002D34: D1FF00F7 073B9BCC
	v_add_u32_e32 v247, s54, v247                              // 000000002D3C: 69EFEE36
	s_lshl_b32 s54, s57, 6                                     // 000000002D40: 8E368639
	v_lshrrev_b32_e32 v204, 4, v0                              // 000000002D44: 21980084
	v_lshlrev_b32_e32 v204, 4, v204                            // 000000002D48: 25999884
	v_and_b32_e32 v205, 15, v0                                 // 000000002D4C: 279A008F
	v_mul_i32_i24_e32 v205, 0x120, v205                        // 000000002D50: 0D9B9AFF 00000120
	v_add3_u32 v248, v204, v205, s54                           // 000000002D58: D1FF00F8 00DB9BCC
	v_lshrrev_b32_e32 v204, 4, v0                              // 000000002D60: 21980084
	v_and_b32_e32 v205, 15, v0                                 // 000000002D64: 279A008F
	v_lshlrev_b32_e32 v206, 4, v205                            // 000000002D68: 259D9A84
	v_mul_i32_i24_e32 v229, 0x1000, v204                       // 000000002D6C: 0DCB98FF 00001000
	v_add_u32_e32 v229, v206, v229                             // 000000002D74: 69CBCBCE
	v_add_u32_e32 v230, 0x4000, v229                           // 000000002D78: 69CDCAFF 00004000
	v_mul_i32_i24_e32 v231, 0x800, v204                        // 000000002D80: 0DCF98FF 00000800
	v_add_u32_e32 v231, v206, v231                             // 000000002D88: 69CFCFCE
	v_add_u32_e32 v232, 0x2000, v231                           // 000000002D8C: 69D1CEFF 00002000
	v_add_u32_e32 v233, 0x2000, v232                           // 000000002D94: 69D3D0FF 00002000
	v_add_u32_e32 v234, 0x2000, v233                           // 000000002D9C: 69D5D2FF 00002000
	v_mov_b32_e32 v235, 0                                      // 000000002DA4: 7FD60280
	v_mov_b32_e32 v236, 0                                      // 000000002DA8: 7FD80280
	s_lshl_b32 s54, s57, 4                                     // 000000002DAC: 8E368439
	v_lshrrev_b32_e32 v221, 4, v0                              // 000000002DB0: 21BA0084
	v_lshlrev_b32_e32 v221, 2, v221                            // 000000002DB4: 25BBBA82
	v_add_u32_e32 v221, s54, v221                              // 000000002DB8: 69BBBA36
	s_lshl_b32 s54, s57, 6                                     // 000000002DBC: 8E368639
	v_lshrrev_b32_e32 v204, 4, v0                              // 000000002DC0: 21980084
	v_lshlrev_b32_e32 v204, 8, v204                            // 000000002DC4: 25999888
	v_and_b32_e32 v205, 15, v0                                 // 000000002DC8: 279A008F
	v_lshlrev_b32_e32 v205, 2, v205                            // 000000002DCC: 259B9A82
	v_add3_u32 v249, s54, v204, v205                           // 000000002DD0: D1FF00F9 07379836
	v_lshlrev_b32_e32 v249, 2, v249                            // 000000002DD8: 25F3F282
	v_and_b32_e32 v250, 15, v0                                 // 000000002DDC: 27F4008F
	v_lshlrev_b32_e32 v250, 4, v250                            // 000000002DE0: 25F5F484
	s_lshl_b32 s54, s57, 8                                     // 000000002DE4: 8E368839
	v_and_b32_e32 v205, 15, v0                                 // 000000002DE8: 279A008F
	v_lshlrev_b32_e32 v205, 4, v205                            // 000000002DEC: 259B9A84
	v_lshrrev_b32_e32 v206, 4, v0                              // 000000002DF0: 219C0084
	v_lshlrev_b32_e32 v206, 2, v206                            // 000000002DF4: 259D9C82
	v_add3_u32 v251, v205, v206, s54                           // 000000002DF8: D1FF00FB 00DB9DCD
	v_and_b32_e32 v204, 15, v0                                 // 000000002E00: 2798008F
	v_lshlrev_b32_e32 v204, 4, v204                            // 000000002E04: 25999884
	v_lshrrev_b32_e32 v205, 4, v0                              // 000000002E08: 219A0084
	v_lshlrev_b32_e32 v205, 8, v205                            // 000000002E0C: 259B9A88
	v_add_u32_e32 v252, v204, v205                             // 000000002E10: 69F99BCC
	s_waitcnt lgkmcnt(0)                                       // 000000002E14: BF8CC07F

0000000000002e18 <label_0206>:
	s_cmp_lt_i32 s80, s81                                      // 000000002E18: BF045150
	s_cbranch_scc0 label_24E5                                  // 000000002E1C: BF8422DD
	s_lshl_b32 s54, s80, 5                                     // 000000002E20: 8E368550
	s_load_dwordx8 s[72:79], s[38:39], s54                     // 000000002E24: C00C1213 00000036
	v_mov_b32_e32 v164, 0xff7fffff                             // 000000002E2C: 7F4802FF FF7FFFFF
	v_mov_b64_e32 v[170:171], 0                                // 000000002E34: 7F547080
	v_mov_b64_e32 v[176:177], 0                                // 000000002E38: 7F607080
	v_mov_b64_e32 v[158:159], 0                                // 000000002E3C: 7F3C7080
	v_mov_b32_e32 v165, 0xff7fffff                             // 000000002E40: 7F4A02FF FF7FFFFF
	v_mov_b64_e32 v[172:173], 0                                // 000000002E48: 7F587080
	v_mov_b64_e32 v[178:179], 0                                // 000000002E4C: 7F647080
	v_mov_b64_e32 v[160:161], 0                                // 000000002E50: 7F407080
	v_mov_b32_e32 v166, 0xff7fffff                             // 000000002E54: 7F4C02FF FF7FFFFF
	v_mov_b64_e32 v[174:175], 0                                // 000000002E5C: 7F5C7080
	v_mov_b64_e32 v[180:181], 0                                // 000000002E60: 7F687080
	v_mov_b64_e32 v[162:163], 0                                // 000000002E64: 7F447080
	v_mov_b32_e32 v124, 0                                      // 000000002E68: 7EF80280
	v_mov_b32_e32 v100, 0                                      // 000000002E6C: 7EC80280
	v_mov_b32_e32 v125, 0                                      // 000000002E70: 7EFA0280
	v_mov_b32_e32 v101, 0                                      // 000000002E74: 7ECA0280
	v_mov_b32_e32 v126, 0                                      // 000000002E78: 7EFC0280
	v_mov_b32_e32 v102, 0                                      // 000000002E7C: 7ECC0280
	v_mov_b32_e32 v127, 0                                      // 000000002E80: 7EFE0280
	v_mov_b32_e32 v103, 0                                      // 000000002E84: 7ECE0280
	v_mov_b32_e32 v128, 0                                      // 000000002E88: 7F000280
	v_mov_b32_e32 v104, 0                                      // 000000002E8C: 7ED00280
	v_mov_b32_e32 v129, 0                                      // 000000002E90: 7F020280
	v_mov_b32_e32 v105, 0                                      // 000000002E94: 7ED20280
	v_mov_b32_e32 v130, 0                                      // 000000002E98: 7F040280
	v_mov_b32_e32 v106, 0                                      // 000000002E9C: 7ED40280
	v_mov_b32_e32 v131, 0                                      // 000000002EA0: 7F060280
	v_mov_b32_e32 v107, 0                                      // 000000002EA4: 7ED60280
	v_mov_b32_e32 v132, 0                                      // 000000002EA8: 7F080280
	v_mov_b32_e32 v108, 0                                      // 000000002EAC: 7ED80280
	v_mov_b32_e32 v133, 0                                      // 000000002EB0: 7F0A0280
	v_mov_b32_e32 v109, 0                                      // 000000002EB4: 7EDA0280
	v_mov_b32_e32 v134, 0                                      // 000000002EB8: 7F0C0280
	v_mov_b32_e32 v110, 0                                      // 000000002EBC: 7EDC0280
	v_mov_b32_e32 v135, 0                                      // 000000002EC0: 7F0E0280
	v_mov_b32_e32 v111, 0                                      // 000000002EC4: 7EDE0280
	v_mov_b32_e32 v136, 0                                      // 000000002EC8: 7F100280
	v_mov_b32_e32 v112, 0                                      // 000000002ECC: 7EE00280
	v_mov_b32_e32 v137, 0                                      // 000000002ED0: 7F120280
	v_mov_b32_e32 v113, 0                                      // 000000002ED4: 7EE20280
	v_mov_b32_e32 v138, 0                                      // 000000002ED8: 7F140280
	v_mov_b32_e32 v114, 0                                      // 000000002EDC: 7EE40280
	v_mov_b32_e32 v139, 0                                      // 000000002EE0: 7F160280
	v_mov_b32_e32 v115, 0                                      // 000000002EE4: 7EE60280
	v_mov_b32_e32 v140, 0                                      // 000000002EE8: 7F180280
	v_mov_b32_e32 v116, 0                                      // 000000002EEC: 7EE80280
	v_mov_b32_e32 v141, 0                                      // 000000002EF0: 7F1A0280
	v_mov_b32_e32 v117, 0                                      // 000000002EF4: 7EEA0280
	v_mov_b32_e32 v142, 0                                      // 000000002EF8: 7F1C0280
	v_mov_b32_e32 v118, 0                                      // 000000002EFC: 7EEC0280
	v_mov_b32_e32 v143, 0                                      // 000000002F00: 7F1E0280
	v_mov_b32_e32 v119, 0                                      // 000000002F04: 7EEE0280
	v_mov_b32_e32 v144, 0                                      // 000000002F08: 7F200280
	v_mov_b32_e32 v120, 0                                      // 000000002F0C: 7EF00280
	v_mov_b32_e32 v145, 0                                      // 000000002F10: 7F220280
	v_mov_b32_e32 v121, 0                                      // 000000002F14: 7EF20280
	v_mov_b32_e32 v146, 0                                      // 000000002F18: 7F240280
	v_mov_b32_e32 v122, 0                                      // 000000002F1C: 7EF40280
	v_mov_b32_e32 v147, 0                                      // 000000002F20: 7F260280
	v_mov_b32_e32 v123, 0                                      // 000000002F24: 7EF60280
	s_waitcnt lgkmcnt(0)                                       // 000000002F28: BF8CC07F
	s_mul_i32 s64, s76, 0x100                                  // 000000002F2C: 9240FF4C 00000100
	s_lshl_b32 s54, s72, 2                                     // 000000002F34: 8E368248
	s_load_dword s60, s[44:45], s54                            // 000000002F38: C0000F16 00000036
	s_load_dword s61, s[40:41], s54                            // 000000002F40: C0000F54 00000036
	s_lshl_b32 s68, s76, 2                                     // 000000002F48: 8E44824C
	s_cmp_lt_u32 s76, s77                                      // 000000002F4C: BF0A4D4C
	s_cselect_b32 s68, s68, 0                                  // 000000002F50: 85448044
	s_addk_i32 s76, 0x1                                        // 000000002F54: B74C0001
	s_load_dword s59, s[42:43], s68                            // 000000002F58: C0000ED5 00000044
	s_and_b32 s79, s79, 0xffff                                 // 000000002F60: 864FFF4F 0000FFFF
	v_cvt_f32_u32_e32 v204, s53                                // 000000002F68: 7F980C35
	s_sub_i32 s78, 0, s53                                      // 000000002F6C: 81CE3580
	v_rcp_iflag_f32_e32 v204, v204                             // 000000002F70: 7F9847CC
	s_nop 0                                                    // 000000002F74: BF800000
	v_mul_f32_e32 v204, 0x4f7ffffe, v204                       // 000000002F78: 0B9998FF 4F7FFFFE
	v_cvt_u32_f32_e32 v204, v204                               // 000000002F80: 7F980FCC
	v_mul_lo_u32 v205, s78, v204                               // 000000002F84: D28500CD 0003984E
	v_mul_hi_u32 v205, v204, v205                              // 000000002F8C: D28600CD 00039BCC
	v_add_u32_e32 v204, v204, v205                             // 000000002F94: 69999BCC
	v_mul_hi_u32 v204, s79, v204                               // 000000002F98: D28600CC 0003984F
	v_mul_lo_u32 v205, v204, s53                               // 000000002FA0: D28500CD 00006BCC
	v_sub_u32_e32 v207, s79, v205                              // 000000002FA8: 6B9F9A4F
	v_add_u32_e32 v206, 1, v204                                // 000000002FAC: 699D9881
	v_cmp_le_u32_e32 vcc, s53, v207                            // 000000002FB0: 7D979E35
	v_subrev_u32_e32 v205, s53, v207                           // 000000002FB4: 6D9B9E35
	s_nop 0                                                    // 000000002FB8: BF800000
	v_cndmask_b32_e32 v204, v204, v206, vcc                    // 000000002FBC: 01999DCC
	v_cndmask_b32_e32 v207, v207, v205, vcc                    // 000000002FC0: 019F9BCF
	v_add_u32_e32 v205, 1, v204                                // 000000002FC4: 699B9881
	v_cmp_le_u32_e32 vcc, s53, v207                            // 000000002FC8: 7D979E35
	s_nop 1                                                    // 000000002FCC: BF800001
	v_cndmask_b32_e32 v207, v204, v205, vcc                    // 000000002FD0: 019F9BCC
	s_nop 3                                                    // 000000002FD4: BF800003
	v_readfirstlane_b32 s78, v207                              // 000000002FD8: 7E9C05CF
	s_nop 3                                                    // 000000002FDC: BF800003
	s_mul_i32 s65, s53, 0x100                                  // 000000002FE0: 9241FF35 00000100
	s_add_u32 s54, s52, 1                                      // 000000002FE8: 80368134
	s_mul_i32 s54, s49, s54                                    // 000000002FEC: 92363631
	s_mul_i32 s54, s72, s54                                    // 000000002FF0: 92363648
	s_mul_i32 s55, s78, s65                                    // 000000002FF4: 9237414E
	s_add_u32 s54, s54, s55                                    // 000000002FF8: 80363736
	s_add_u32 s8, s84, s54                                     // 000000002FFC: 80083654
	s_addc_u32 s9, s85, 0                                      // 000000003000: 82098055
	s_mul_i32 s54, s52, s49                                    // 000000003004: 92363134
	s_add_u32 s10, s54, s65                                    // 000000003008: 800A4136
	s_add_u32 s54, s52, 1                                      // 00000000300C: 80368134
	s_mul_i32 s54, s54, s67                                    // 000000003010: 92364336
	s_mul_i32 s54, s54, s72                                    // 000000003014: 92364836
	s_mul_i32 s55, s78, s65                                    // 000000003018: 9237414E
	s_add_u32 s54, s54, s55                                    // 00000000301C: 80363736
	s_add_u32 s4, s82, s54                                     // 000000003020: 80043652
	s_addc_u32 s5, s83, 0                                      // 000000003024: 82058053
	s_mul_i32 s54, s52, s67                                    // 000000003028: 92364334
	s_add_u32 s6, s54, s65                                     // 00000000302C: 80064136
	s_mul_i32 s55, s53, 0x200                                  // 000000003030: 9237FF35 00000200
	s_mul_i32 s54, s73, s48                                    // 000000003038: 92363049
	s_add_u32 s54, s54, s78                                    // 00000000303C: 80364E36
	s_mul_i32 s54, s54, s55                                    // 000000003040: 92363736
	s_add_u32 s28, s94, s54                                    // 000000003044: 801C365E
	s_addc_u32 s29, s95, 0                                     // 000000003048: 821D805F
	s_add_u32 s54, s52, 1                                      // 00000000304C: 80368134
	s_mul_i32 s54, s54, s48                                    // 000000003050: 92363036
	s_mul_i32 s30, s54, s55                                    // 000000003054: 921E3736
	s_mul_i32 s55, s53, 4                                      // 000000003058: 92378435
	s_mul_i32 s54, s73, s48                                    // 00000000305C: 92363049
	s_add_u32 s54, s54, s78                                    // 000000003060: 80364E36
	s_mul_i32 s54, s54, s55                                    // 000000003064: 92363736
	s_add_u32 s32, s96, s54                                    // 000000003068: 80203660
	s_addc_u32 s33, s97, 0                                     // 00000000306C: 82218061
	s_add_u32 s54, s52, 1                                      // 000000003070: 80368134
	s_mul_i32 s54, s54, s48                                    // 000000003074: 92363036
	s_mul_i32 s34, s54, s55                                    // 000000003078: 92223736
	buffer_load_dwordx4 v[4:7], v223, s[8:11], 0 offen         // 00000000307C: E05C1000 800204DF
	buffer_load_dwordx4 v[8:11], v224, s[8:11], 0 offen        // 000000003084: E05C1000 800208E0
	buffer_load_dwordx4 v[12:15], v225, s[8:11], 0 offen       // 00000000308C: E05C1000 80020CE1
	s_waitcnt lgkmcnt(0)                                       // 000000003094: BF8CC07F
	s_mul_i32 s54, s60, 0x100                                  // 000000003098: 9236FF3C 00000100
	s_sub_i32 s64, s64, s54                                    // 0000000030A0: 81C03640
	s_mul_i32 s69, s59, s50                                    // 0000000030A4: 9245323B
	s_mul_i32 s71, s59, s66                                    // 0000000030A8: 9247423B
	s_mul_i32 s54, s78, s51                                    // 0000000030AC: 9236334E
	s_add_u32 s69, s69, s54                                    // 0000000030B0: 80453645
	s_mov_b32 s70, s69                                         // 0000000030B4: BEC60045
	s_mul_i32 s54, s78, 4                                      // 0000000030B8: 9236844E
	s_add_u32 s71, s71, s54                                    // 0000000030BC: 80473647
	s_add_u32 s12, s86, s69                                    // 0000000030C0: 800C4556
	s_addc_u32 s13, s87, 0                                     // 0000000030C4: 820D8057
	s_add_u32 s16, s88, s70                                    // 0000000030C8: 80104658
	s_addc_u32 s17, s89, 0                                     // 0000000030CC: 82118059
	s_add_u32 s20, s90, s71                                    // 0000000030D0: 8014475A
	s_addc_u32 s21, s91, 0                                     // 0000000030D4: 8215805B
	s_add_u32 s24, s92, s71                                    // 0000000030D8: 8018475C
	s_addc_u32 s25, s93, 0                                     // 0000000030DC: 8219805D
	buffer_load_dwordx4 a[24:27], v229, s[12:15], 0 offen      // 0000000030E0: E05C1000 808318E5
	buffer_load_dwordx4 a[28:31], v230, s[12:15], 0 offen      // 0000000030E8: E05C1000 80831CE6
	buffer_load_dwordx4 a[32:35], v229, s[12:15], 0 offen offset:1024// 0000000030F0: E05C1400 808320E5
	buffer_load_dwordx4 a[36:39], v230, s[12:15], 0 offen offset:1024// 0000000030F8: E05C1400 808324E6
	buffer_load_dwordx4 a[40:43], v229, s[12:15], 0 offen offset:2048// 000000003100: E05C1800 808328E5
	buffer_load_dwordx4 a[44:47], v230, s[12:15], 0 offen offset:2048// 000000003108: E05C1800 80832CE6
	buffer_load_dwordx4 a[48:51], v229, s[12:15], 0 offen offset:3072// 000000003110: E05C1C00 808330E5
	buffer_load_dwordx4 a[52:55], v230, s[12:15], 0 offen offset:3072// 000000003118: E05C1C00 808334E6
	buffer_load_dword v154, v235, s[20:23], 0 offen            // 000000003120: E0501000 80059AEB
	buffer_load_dword v156, v236, s[24:27], 0 offen            // 000000003128: E0501000 80069CEC
	buffer_load_dwordx4 a[88:91], v231, s[16:19], 0 offen      // 000000003130: E05C1000 808458E7
	buffer_load_dwordx4 a[92:95], v232, s[16:19], 0 offen      // 000000003138: E05C1000 80845CE8
	buffer_load_dwordx4 a[96:99], v233, s[16:19], 0 offen      // 000000003140: E05C1000 808460E9
	buffer_load_dwordx4 a[100:103], v234, s[16:19], 0 offen    // 000000003148: E05C1000 808464EA
	buffer_load_dwordx4 a[104:107], v231, s[16:19], 0 offen offset:1024// 000000003150: E05C1400 808468E7
	buffer_load_dwordx4 a[108:111], v232, s[16:19], 0 offen offset:1024// 000000003158: E05C1400 80846CE8
	buffer_load_dwordx4 a[112:115], v233, s[16:19], 0 offen offset:1024// 000000003160: E05C1400 808470E9
	buffer_load_dwordx4 a[116:119], v234, s[16:19], 0 offen offset:1024// 000000003168: E05C1400 808474EA
	s_sub_i32 s54, s77, s60                                    // 000000003170: 81B63C4D
	s_mul_i32 s62, s54, 0x100                                  // 000000003174: 923EFF36 00000100
	s_cmp_lt_i32 s62, s61                                      // 00000000317C: BF043D3E
	s_cselect_b32 s62, s62, s61                                // 000000003180: 853E3D3E
	s_sub_i32 s54, s61, s52                                    // 000000003184: 81B6343D
	v_and_b32_e32 v188, 15, v0                                 // 000000003188: 2778008F
	v_add_u32_e32 v189, 16, v188                               // 00000000318C: 697B7890
	v_add_u32_e32 v190, 16, v189                               // 000000003190: 697D7A90
	s_cmp_lt_i32 s62, s54                                      // 000000003194: BF04363E
	s_cselect_b32 s63, s62, s54                                // 000000003198: 853F363E
	s_and_b32 s63, s63, 0xffffff00                             // 00000000319C: 863FFF3F FFFFFF00
	v_cvt_f32_u32_e32 v204, s53                                // 0000000031A4: 7F980C35
	v_sub_i32 v192, 0, s53                                     // 0000000031A8: D29D00C0 00006A80
	v_rcp_iflag_f32_e32 v204, v204                             // 0000000031B0: 7F9847CC
	s_nop 0                                                    // 0000000031B4: BF800000
	v_mul_f32_e32 v204, 0x4f7ffffe, v204                       // 0000000031B8: 0B9998FF 4F7FFFFE
	v_cvt_u32_f32_e32 v204, v204                               // 0000000031C0: 7F980FCC
	v_mul_lo_u32 v205, v192, v204                              // 0000000031C4: D28500CD 000399C0
	v_mul_hi_u32 v205, v204, v205                              // 0000000031CC: D28600CD 00039BCC
	v_add_u32_e32 v204, v204, v205                             // 0000000031D4: 69999BCC
	v_mul_hi_u32 v204, v188, v204                              // 0000000031D8: D28600CC 000399BC
	v_mul_lo_u32 v205, v204, s53                               // 0000000031E0: D28500CD 00006BCC
	v_sub_u32_e32 v207, v188, v205                             // 0000000031E8: 6B9F9BBC
	v_add_u32_e32 v206, 1, v204                                // 0000000031EC: 699D9881
	v_cmp_le_u32_e32 vcc, s53, v207                            // 0000000031F0: 7D979E35
	v_subrev_u32_e32 v205, s53, v207                           // 0000000031F4: 6D9B9E35
	s_nop 0                                                    // 0000000031F8: BF800000
	v_cndmask_b32_e32 v204, v204, v206, vcc                    // 0000000031FC: 01999DCC
	v_cndmask_b32_e32 v207, v207, v205, vcc                    // 000000003200: 019F9BCF
	v_add_u32_e32 v205, 1, v204                                // 000000003204: 699B9881
	v_cmp_le_u32_e32 vcc, s53, v207                            // 000000003208: 7D979E35
	s_nop 1                                                    // 00000000320C: BF800001
	v_cndmask_b32_e32 v192, v204, v205, vcc                    // 000000003210: 01819BCC
	v_add_u32_e32 v218, s54, v192                              // 000000003214: 69B58036
	v_cmp_lt_u32_e32 vcc, s62, v218                            // 000000003218: 7D93B43E
	v_mov_b32_e32 v205, s62                                    // 00000000321C: 7F9A023E
	v_cndmask_b32_e32 v218, v218, v205, vcc                    // 000000003220: 01B59BDA
	v_cvt_f32_u32_e32 v204, s53                                // 000000003224: 7F980C35
	v_sub_i32 v192, 0, s53                                     // 000000003228: D29D00C0 00006A80
	v_rcp_iflag_f32_e32 v204, v204                             // 000000003230: 7F9847CC
	s_nop 0                                                    // 000000003234: BF800000
	v_mul_f32_e32 v204, 0x4f7ffffe, v204                       // 000000003238: 0B9998FF 4F7FFFFE
	v_cvt_u32_f32_e32 v204, v204                               // 000000003240: 7F980FCC
	v_mul_lo_u32 v205, v192, v204                              // 000000003244: D28500CD 000399C0
	v_mul_hi_u32 v205, v204, v205                              // 00000000324C: D28600CD 00039BCC
	v_add_u32_e32 v204, v204, v205                             // 000000003254: 69999BCC
	v_mul_hi_u32 v204, v189, v204                              // 000000003258: D28600CC 000399BD
	v_mul_lo_u32 v205, v204, s53                               // 000000003260: D28500CD 00006BCC
	v_sub_u32_e32 v207, v189, v205                             // 000000003268: 6B9F9BBD
	v_add_u32_e32 v206, 1, v204                                // 00000000326C: 699D9881
	v_cmp_le_u32_e32 vcc, s53, v207                            // 000000003270: 7D979E35
	v_subrev_u32_e32 v205, s53, v207                           // 000000003274: 6D9B9E35
	s_nop 0                                                    // 000000003278: BF800000
	v_cndmask_b32_e32 v204, v204, v206, vcc                    // 00000000327C: 01999DCC
	v_cndmask_b32_e32 v207, v207, v205, vcc                    // 000000003280: 019F9BCF
	v_add_u32_e32 v205, 1, v204                                // 000000003284: 699B9881
	v_cmp_le_u32_e32 vcc, s53, v207                            // 000000003288: 7D979E35
	s_nop 1                                                    // 00000000328C: BF800001
	v_cndmask_b32_e32 v192, v204, v205, vcc                    // 000000003290: 01819BCC
	v_add_u32_e32 v219, s54, v192                              // 000000003294: 69B78036
	v_cmp_lt_u32_e32 vcc, s62, v219                            // 000000003298: 7D93B63E
	v_mov_b32_e32 v205, s62                                    // 00000000329C: 7F9A023E
	v_cndmask_b32_e32 v219, v219, v205, vcc                    // 0000000032A0: 01B79BDB
	v_cvt_f32_u32_e32 v204, s53                                // 0000000032A4: 7F980C35
	v_sub_i32 v192, 0, s53                                     // 0000000032A8: D29D00C0 00006A80
	v_rcp_iflag_f32_e32 v204, v204                             // 0000000032B0: 7F9847CC
	s_nop 0                                                    // 0000000032B4: BF800000
	v_mul_f32_e32 v204, 0x4f7ffffe, v204                       // 0000000032B8: 0B9998FF 4F7FFFFE
	v_cvt_u32_f32_e32 v204, v204                               // 0000000032C0: 7F980FCC
	v_mul_lo_u32 v205, v192, v204                              // 0000000032C4: D28500CD 000399C0
	v_mul_hi_u32 v205, v204, v205                              // 0000000032CC: D28600CD 00039BCC
	v_add_u32_e32 v204, v204, v205                             // 0000000032D4: 69999BCC
	v_mul_hi_u32 v204, v190, v204                              // 0000000032D8: D28600CC 000399BE
	v_mul_lo_u32 v205, v204, s53                               // 0000000032E0: D28500CD 00006BCC
	v_sub_u32_e32 v207, v190, v205                             // 0000000032E8: 6B9F9BBE
	v_add_u32_e32 v206, 1, v204                                // 0000000032EC: 699D9881
	v_cmp_le_u32_e32 vcc, s53, v207                            // 0000000032F0: 7D979E35
	v_subrev_u32_e32 v205, s53, v207                           // 0000000032F4: 6D9B9E35
	s_nop 0                                                    // 0000000032F8: BF800000
	v_cndmask_b32_e32 v204, v204, v206, vcc                    // 0000000032FC: 01999DCC
	v_cndmask_b32_e32 v207, v207, v205, vcc                    // 000000003300: 019F9BCF
	v_add_u32_e32 v205, 1, v204                                // 000000003304: 699B9881
	v_cmp_le_u32_e32 vcc, s53, v207                            // 000000003308: 7D979E35
	s_nop 1                                                    // 00000000330C: BF800001
	v_cndmask_b32_e32 v192, v204, v205, vcc                    // 000000003310: 01819BCC
	v_add_u32_e32 v220, s54, v192                              // 000000003314: 69B98036
	v_cmp_lt_u32_e32 vcc, s62, v220                            // 000000003318: 7D93B83E
	v_mov_b32_e32 v205, s62                                    // 00000000331C: 7F9A023E
	v_cndmask_b32_e32 v220, v220, v205, vcc                    // 000000003320: 01B99BDC
	s_waitcnt vmcnt(18)                                        // 000000003324: BF8C4F72
	v_lshlrev_b32_e32 v16, 16, v4                              // 000000003328: 24200890
	v_and_b32_e32 v17, 0xffff0000, v4                          // 00000000332C: 262208FF FFFF0000
	v_lshlrev_b32_e32 v18, 16, v5                              // 000000003334: 24240A90
	v_and_b32_e32 v19, 0xffff0000, v5                          // 000000003338: 26260AFF FFFF0000
	v_lshlrev_b32_e32 v20, 16, v6                              // 000000003340: 24280C90
	v_and_b32_e32 v21, 0xffff0000, v6                          // 000000003344: 262A0CFF FFFF0000
	v_lshlrev_b32_e32 v22, 16, v7                              // 00000000334C: 242C0E90
	v_and_b32_e32 v23, 0xffff0000, v7                          // 000000003350: 262E0EFF FFFF0000
	v_lshlrev_b32_e32 v24, 16, v8                              // 000000003358: 24301090
	v_and_b32_e32 v25, 0xffff0000, v8                          // 00000000335C: 263210FF FFFF0000
	v_lshlrev_b32_e32 v26, 16, v9                              // 000000003364: 24341290
	v_and_b32_e32 v27, 0xffff0000, v9                          // 000000003368: 263612FF FFFF0000
	v_lshlrev_b32_e32 v28, 16, v10                             // 000000003370: 24381490
	v_and_b32_e32 v29, 0xffff0000, v10                         // 000000003374: 263A14FF FFFF0000
	v_lshlrev_b32_e32 v30, 16, v11                             // 00000000337C: 243C1690
	v_and_b32_e32 v31, 0xffff0000, v11                         // 000000003380: 263E16FF FFFF0000
	v_lshlrev_b32_e32 v32, 16, v12                             // 000000003388: 24401890
	v_and_b32_e32 v33, 0xffff0000, v12                         // 00000000338C: 264218FF FFFF0000
	v_lshlrev_b32_e32 v34, 16, v13                             // 000000003394: 24441A90
	v_and_b32_e32 v35, 0xffff0000, v13                         // 000000003398: 26461AFF FFFF0000
	v_lshlrev_b32_e32 v36, 16, v14                             // 0000000033A0: 24481C90
	v_and_b32_e32 v37, 0xffff0000, v14                         // 0000000033A4: 264A1CFF FFFF0000
	v_lshlrev_b32_e32 v38, 16, v15                             // 0000000033AC: 244C1E90
	v_and_b32_e32 v39, 0xffff0000, v15                         // 0000000033B0: 264E1EFF FFFF0000
	v_mov_b32_e32 v182, 0x358637bd                             // 0000000033B8: 7F6C02FF 358637BD
	v_max3_f32 v182, |v16|, |v17|, v182                        // 0000000033C0: D1D303B6 06DA2310
	v_max3_f32 v182, |v18|, |v19|, v182                        // 0000000033C8: D1D303B6 06DA2712
	v_max3_f32 v182, |v20|, |v21|, v182                        // 0000000033D0: D1D303B6 06DA2B14
	v_max3_f32 v182, |v22|, |v23|, v182                        // 0000000033D8: D1D303B6 06DA2F16
	v_mov_b32_e32 v183, 0x358637bd                             // 0000000033E0: 7F6E02FF 358637BD
	v_max3_f32 v183, |v24|, |v25|, v183                        // 0000000033E8: D1D303B7 06DE3318
	v_max3_f32 v183, |v26|, |v27|, v183                        // 0000000033F0: D1D303B7 06DE371A
	v_max3_f32 v183, |v28|, |v29|, v183                        // 0000000033F8: D1D303B7 06DE3B1C
	v_max3_f32 v183, |v30|, |v31|, v183                        // 000000003400: D1D303B7 06DE3F1E
	v_mov_b32_e32 v184, 0x358637bd                             // 000000003408: 7F7002FF 358637BD
	v_max3_f32 v184, |v32|, |v33|, v184                        // 000000003410: D1D303B8 06E24320
	v_max3_f32 v184, |v34|, |v35|, v184                        // 000000003418: D1D303B8 06E24722
	v_max3_f32 v184, |v36|, |v37|, v184                        // 000000003420: D1D303B8 06E24B24
	v_max3_f32 v184, |v38|, |v39|, v184                        // 000000003428: D1D303B8 06E24F26
	v_max_f32_dpp v182, v182, v182 row_shl:8 row_mask:0xf bank_mask:0xf bound_ctrl:1// 000000003430: 176D6CFA FF0908B6
	v_max_f32_dpp v183, v183, v183 row_shl:8 row_mask:0xf bank_mask:0xf bound_ctrl:1// 000000003438: 176F6EFA FF0908B7
	v_max_f32_dpp v184, v184, v184 row_shl:8 row_mask:0xf bank_mask:0xf bound_ctrl:1// 000000003440: 177170FA FF0908B8
	v_max_f32_dpp v182, v182, v182 row_shl:4 row_mask:0xf bank_mask:0xf bound_ctrl:1// 000000003448: 176D6CFA FF0904B6
	v_max_f32_dpp v183, v183, v183 row_shl:4 row_mask:0xf bank_mask:0xf bound_ctrl:1// 000000003450: 176F6EFA FF0904B7
	v_max_f32_dpp v184, v184, v184 row_shl:4 row_mask:0xf bank_mask:0xf bound_ctrl:1// 000000003458: 177170FA FF0904B8
	v_max_f32_dpp v182, v182, v182 row_shl:2 row_mask:0xf bank_mask:0xf bound_ctrl:1// 000000003460: 176D6CFA FF0902B6
	v_max_f32_dpp v183, v183, v183 row_shl:2 row_mask:0xf bank_mask:0xf bound_ctrl:1// 000000003468: 176F6EFA FF0902B7
	v_max_f32_dpp v184, v184, v184 row_shl:2 row_mask:0xf bank_mask:0xf bound_ctrl:1// 000000003470: 177170FA FF0902B8
	v_max_f32_dpp v182, v182, v182 row_shl:1 row_mask:0xf bank_mask:0xf bound_ctrl:1// 000000003478: 176D6CFA FF0901B6
	v_max_f32_dpp v183, v183, v183 row_shl:1 row_mask:0xf bank_mask:0xf bound_ctrl:1// 000000003480: 176F6EFA FF0901B7
	v_max_f32_dpp v184, v184, v184 row_shl:1 row_mask:0xf bank_mask:0xf bound_ctrl:1// 000000003488: 177170FA FF0901B8
	ds_write_b128 v243, v[182:185] offset:4096                 // 000000003490: D9BE1000 0000B6F3
	s_waitcnt lgkmcnt(0)                                       // 000000003498: BF8CC07F
	s_barrier                                                  // 00000000349C: BF8A0000
	ds_read_b128 v[182:185], v245 offset:4096                  // 0000000034A0: D9FE1000 B60000F5
	s_waitcnt lgkmcnt(0)                                       // 0000000034A8: BF8CC07F
	v_rcp_f32_e32 v182, v182                                   // 0000000034AC: 7F6C45B6
	v_rcp_f32_e32 v183, v183                                   // 0000000034B0: 7F6E45B7
	v_rcp_f32_e32 v184, v184                                   // 0000000034B4: 7F7045B8
	v_mul_f32_e32 v182, 0x43700000, v182                       // 0000000034B8: 0B6D6CFF 43700000
	v_mul_f32_e32 v183, 0x43700000, v183                       // 0000000034C0: 0B6F6EFF 43700000
	v_mul_f32_e32 v184, 0x43700000, v184                       // 0000000034C8: 0B7170FF 43700000
	s_lshl_b32 s54, s57, 2                                     // 0000000034D0: 8E368239
	v_lshrrev_b32_e32 v207, 4, v0                              // 0000000034D4: 219E0084
	v_add_u32_e32 v207, s54, v207                              // 0000000034D8: 699F9E36
	v_lshlrev_b32_e32 v207, 2, v207                            // 0000000034DC: 259F9E82
	ds_bpermute_b32 v204, v207, v182                           // 0000000034E0: D87E0000 CC00B6CF
	ds_bpermute_b32 v205, v207, v183                           // 0000000034E8: D87E0000 CD00B7CF
	ds_bpermute_b32 v206, v207, v184                           // 0000000034F0: D87E0000 CE00B8CF
	v_rcp_f32_e32 v148, v182                                   // 0000000034F8: 7F2845B6
	v_rcp_f32_e32 v150, v183                                   // 0000000034FC: 7F2C45B7
	v_rcp_f32_e32 v152, v184                                   // 000000003500: 7F3045B8
	v_mov_b32_e32 v149, v148                                   // 000000003504: 7F2A0394
	v_mov_b32_e32 v151, v150                                   // 000000003508: 7F2E0396
	v_mov_b32_e32 v153, v152                                   // 00000000350C: 7F320398
	s_waitcnt lgkmcnt(0)                                       // 000000003510: BF8CC07F
	v_mul_f32_e32 v16, v16, v204                               // 000000003514: 0A219910
	v_mul_f32_e32 v17, v17, v204                               // 000000003518: 0A239911
	v_mul_f32_e32 v18, v18, v204                               // 00000000351C: 0A259912
	v_mul_f32_e32 v19, v19, v204                               // 000000003520: 0A279913
	v_mul_f32_e32 v20, v20, v204                               // 000000003524: 0A299914
	v_mul_f32_e32 v21, v21, v204                               // 000000003528: 0A2B9915
	v_mul_f32_e32 v22, v22, v204                               // 00000000352C: 0A2D9916
	v_mul_f32_e32 v23, v23, v204                               // 000000003530: 0A2F9917
	v_mul_f32_e32 v24, v24, v205                               // 000000003534: 0A319B18
	v_mul_f32_e32 v25, v25, v205                               // 000000003538: 0A339B19
	v_mul_f32_e32 v26, v26, v205                               // 00000000353C: 0A359B1A
	v_mul_f32_e32 v27, v27, v205                               // 000000003540: 0A379B1B
	v_mul_f32_e32 v28, v28, v205                               // 000000003544: 0A399B1C
	v_mul_f32_e32 v29, v29, v205                               // 000000003548: 0A3B9B1D
	v_mul_f32_e32 v30, v30, v205                               // 00000000354C: 0A3D9B1E
	v_mul_f32_e32 v31, v31, v205                               // 000000003550: 0A3F9B1F
	v_mul_f32_e32 v32, v32, v206                               // 000000003554: 0A419D20
	v_mul_f32_e32 v33, v33, v206                               // 000000003558: 0A439D21
	v_mul_f32_e32 v34, v34, v206                               // 00000000355C: 0A459D22
	v_mul_f32_e32 v35, v35, v206                               // 000000003560: 0A479D23
	v_mul_f32_e32 v36, v36, v206                               // 000000003564: 0A499D24
	v_mul_f32_e32 v37, v37, v206                               // 000000003568: 0A4B9D25
	v_mul_f32_e32 v38, v38, v206                               // 00000000356C: 0A4D9D26
	v_mul_f32_e32 v39, v39, v206                               // 000000003570: 0A4F9D27
	v_cvt_pk_fp8_f32 v16, v16, v17                             // 000000003574: D2A20010 00022310
	v_cvt_pk_fp8_f32 v16, v18, v19 op_sel:[0,0,1]              // 00000000357C: D2A24010 00022712
	v_cvt_pk_fp8_f32 v17, v20, v21                             // 000000003584: D2A20011 00022B14
	v_cvt_pk_fp8_f32 v17, v22, v23 op_sel:[0,0,1]              // 00000000358C: D2A24011 00022F16
	v_cvt_pk_fp8_f32 v18, v24, v25                             // 000000003594: D2A20012 00023318
	v_cvt_pk_fp8_f32 v18, v26, v27 op_sel:[0,0,1]              // 00000000359C: D2A24012 0002371A
	v_cvt_pk_fp8_f32 v19, v28, v29                             // 0000000035A4: D2A20013 00023B1C
	v_cvt_pk_fp8_f32 v19, v30, v31 op_sel:[0,0,1]              // 0000000035AC: D2A24013 00023F1E
	v_cvt_pk_fp8_f32 v20, v32, v33                             // 0000000035B4: D2A20014 00024320
	v_cvt_pk_fp8_f32 v20, v34, v35 op_sel:[0,0,1]              // 0000000035BC: D2A24014 00024722
	v_cvt_pk_fp8_f32 v21, v36, v37                             // 0000000035C4: D2A20015 00024B24
	v_cvt_pk_fp8_f32 v21, v38, v39 op_sel:[0,0,1]              // 0000000035CC: D2A24015 00024F26
	ds_write_b64 v244, v[16:17] offset:8192                    // 0000000035D4: D89A2000 000010F4
	ds_write_b64 v244, v[18:19] offset:10496                   // 0000000035DC: D89A2900 000012F4
	ds_write_b64 v244, v[20:21] offset:12800                   // 0000000035E4: D89A3200 000014F4
	s_waitcnt lgkmcnt(0)                                       // 0000000035EC: BF8CC07F
	s_barrier                                                  // 0000000035F0: BF8A0000
	ds_read_b128 a[0:3], v246 offset:8192                      // 0000000035F4: DBFE2000 000000F6
	ds_read_b128 a[4:7], v246 offset:8256                      // 0000000035FC: DBFE2040 040000F6
	ds_read_b128 a[8:11], v246 offset:10496                    // 000000003604: DBFE2900 080000F6
	ds_read_b128 a[12:15], v246 offset:10560                   // 00000000360C: DBFE2940 0C0000F6
	ds_read_b128 a[16:19], v246 offset:12800                   // 000000003614: DBFE3200 100000F6
	ds_read_b128 a[20:23], v246 offset:12864                   // 00000000361C: DBFE3240 140000F6
	s_waitcnt lgkmcnt(0)                                       // 000000003624: BF8CC07F
	s_cmp_lt_i32 s57, 2                                        // 000000003628: BF048239
	s_cbranch_scc0 label_0C60                                  // 00000000362C: BF840854

0000000000003630 <label_040C>:
	s_cmp_lt_i32 s64, s63                                      // 000000003630: BF043F40
	s_cbranch_scc0 label_14B4                                  // 000000003634: BF8410A6
	s_waitcnt vmcnt(10)                                        // 000000003638: BF8C0F7A
	s_lshl_b32 s68, s76, 2                                     // 00000000363C: 8E44824C
	s_cmp_lt_u32 s76, s77                                      // 000000003640: BF0A4D4C
	s_cselect_b32 s68, s68, 0                                  // 000000003644: 85448044
	s_addk_i32 s76, 0x1                                        // 000000003648: B74C0001
	s_load_dword s59, s[42:43], s68                            // 00000000364C: C0000ED5 00000044
	s_waitcnt lgkmcnt(0)                                       // 000000003654: BF8CC07F
	s_mul_i32 s69, s59, s50                                    // 000000003658: 9245323B
	s_mul_i32 s71, s59, s66                                    // 00000000365C: 9247423B
	s_mul_i32 s54, s78, s51                                    // 000000003660: 9236334E
	s_add_u32 s69, s69, s54                                    // 000000003664: 80453645
	s_mov_b32 s70, s69                                         // 000000003668: BEC60045
	s_mul_i32 s54, s78, 4                                      // 00000000366C: 9236844E
	s_add_u32 s71, s71, s54                                    // 000000003670: 80473647
	s_add_u32 s12, s86, s69                                    // 000000003674: 800C4556
	s_addc_u32 s13, s87, 0                                     // 000000003678: 820D8057
	s_add_u32 s16, s88, s70                                    // 00000000367C: 80104658
	s_addc_u32 s17, s89, 0                                     // 000000003680: 82118059
	s_add_u32 s20, s90, s71                                    // 000000003684: 8014475A
	s_addc_u32 s21, s91, 0                                     // 000000003688: 8215805B
	s_add_u32 s24, s92, s71                                    // 00000000368C: 8018475C
	s_addc_u32 s25, s93, 0                                     // 000000003690: 8219805D
	v_mfma_f32_16x16x32_fp8_fp8 v[4:7], a[24:25], a[0:1], 0    // 000000003694: D3F30004 1A020118
	v_mfma_f32_16x16x32_fp8_fp8 v[4:7], a[26:27], a[2:3], v[4:7]// 00000000369C: D3F30004 1C12051A
	v_mfma_f32_16x16x32_fp8_fp8 v[4:7], a[28:29], a[4:5], v[4:7]// 0000000036A4: D3F30004 1C12091C
	buffer_load_dwordx4 a[56:59], v229, s[12:15], 0 offen      // 0000000036AC: E05C1000 808338E5
	v_mfma_f32_16x16x32_fp8_fp8 v[4:7], a[30:31], a[6:7], v[4:7]// 0000000036B4: D3F30004 1C120D1E
	v_mfma_f32_16x16x32_fp8_fp8 v[8:11], a[32:33], a[0:1], 0   // 0000000036BC: D3F30008 1A020120
	v_mfma_f32_16x16x32_fp8_fp8 v[8:11], a[34:35], a[2:3], v[8:11]// 0000000036C4: D3F30008 1C220522
	v_mfma_f32_16x16x32_fp8_fp8 v[8:11], a[36:37], a[4:5], v[8:11]// 0000000036CC: D3F30008 1C220924
	buffer_load_dwordx4 a[60:63], v230, s[12:15], 0 offen      // 0000000036D4: E05C1000 80833CE6
	v_mfma_f32_16x16x32_fp8_fp8 v[8:11], a[38:39], a[6:7], v[8:11]// 0000000036DC: D3F30008 1C220D26
	v_mfma_f32_16x16x32_fp8_fp8 v[12:15], a[40:41], a[0:1], 0  // 0000000036E4: D3F3000C 1A020128
	v_mfma_f32_16x16x32_fp8_fp8 v[12:15], a[42:43], a[2:3], v[12:15]// 0000000036EC: D3F3000C 1C32052A
	v_mfma_f32_16x16x32_fp8_fp8 v[12:15], a[44:45], a[4:5], v[12:15]// 0000000036F4: D3F3000C 1C32092C
	buffer_load_dwordx4 a[64:67], v229, s[12:15], 0 offen offset:1024// 0000000036FC: E05C1400 808340E5
	v_mfma_f32_16x16x32_fp8_fp8 v[12:15], a[46:47], a[6:7], v[12:15]// 000000003704: D3F3000C 1C320D2E
	v_mfma_f32_16x16x32_fp8_fp8 v[16:19], a[48:49], a[0:1], 0  // 00000000370C: D3F30010 1A020130
	v_mfma_f32_16x16x32_fp8_fp8 v[16:19], a[50:51], a[2:3], v[16:19]// 000000003714: D3F30010 1C420532
	v_mfma_f32_16x16x32_fp8_fp8 v[16:19], a[52:53], a[4:5], v[16:19]// 00000000371C: D3F30010 1C420934
	buffer_load_dwordx4 a[68:71], v230, s[12:15], 0 offen offset:1024// 000000003724: E05C1400 808344E6
	v_mfma_f32_16x16x32_fp8_fp8 v[16:19], a[54:55], a[6:7], v[16:19]// 00000000372C: D3F30010 1C420D36
	v_mfma_f32_16x16x32_fp8_fp8 v[20:23], a[24:25], a[8:9], 0  // 000000003734: D3F30014 1A021118
	v_mfma_f32_16x16x32_fp8_fp8 v[20:23], a[26:27], a[10:11], v[20:23]// 00000000373C: D3F30014 1C52151A
	v_mfma_f32_16x16x32_fp8_fp8 v[20:23], a[28:29], a[12:13], v[20:23]// 000000003744: D3F30014 1C52191C
	buffer_load_dwordx4 a[72:75], v229, s[12:15], 0 offen offset:2048// 00000000374C: E05C1800 808348E5
	v_mfma_f32_16x16x32_fp8_fp8 v[20:23], a[30:31], a[14:15], v[20:23]// 000000003754: D3F30014 1C521D1E
	v_mfma_f32_16x16x32_fp8_fp8 v[24:27], a[32:33], a[8:9], 0  // 00000000375C: D3F30018 1A021120
	v_mfma_f32_16x16x32_fp8_fp8 v[24:27], a[34:35], a[10:11], v[24:27]// 000000003764: D3F30018 1C621522
	v_mfma_f32_16x16x32_fp8_fp8 v[24:27], a[36:37], a[12:13], v[24:27]// 00000000376C: D3F30018 1C621924
	buffer_load_dwordx4 a[76:79], v230, s[12:15], 0 offen offset:2048// 000000003774: E05C1800 80834CE6
	v_mfma_f32_16x16x32_fp8_fp8 v[24:27], a[38:39], a[14:15], v[24:27]// 00000000377C: D3F30018 1C621D26
	v_mfma_f32_16x16x32_fp8_fp8 v[28:31], a[40:41], a[8:9], 0  // 000000003784: D3F3001C 1A021128
	v_mfma_f32_16x16x32_fp8_fp8 v[28:31], a[42:43], a[10:11], v[28:31]// 00000000378C: D3F3001C 1C72152A
	v_mfma_f32_16x16x32_fp8_fp8 v[28:31], a[44:45], a[12:13], v[28:31]// 000000003794: D3F3001C 1C72192C
	buffer_load_dwordx4 a[80:83], v229, s[12:15], 0 offen offset:3072// 00000000379C: E05C1C00 808350E5
	v_mfma_f32_16x16x32_fp8_fp8 v[28:31], a[46:47], a[14:15], v[28:31]// 0000000037A4: D3F3001C 1C721D2E
	v_mfma_f32_16x16x32_fp8_fp8 v[32:35], a[48:49], a[8:9], 0  // 0000000037AC: D3F30020 1A021130
	v_mfma_f32_16x16x32_fp8_fp8 v[32:35], a[50:51], a[10:11], v[32:35]// 0000000037B4: D3F30020 1C821532
	v_mfma_f32_16x16x32_fp8_fp8 v[32:35], a[52:53], a[12:13], v[32:35]// 0000000037BC: D3F30020 1C821934
	buffer_load_dwordx4 a[84:87], v230, s[12:15], 0 offen offset:3072// 0000000037C4: E05C1C00 808354E6
	v_mfma_f32_16x16x32_fp8_fp8 v[32:35], a[54:55], a[14:15], v[32:35]// 0000000037CC: D3F30020 1C821D36
	v_mfma_f32_16x16x32_fp8_fp8 v[36:39], a[24:25], a[16:17], 0// 0000000037D4: D3F30024 1A022118
	v_mfma_f32_16x16x32_fp8_fp8 v[36:39], a[26:27], a[18:19], v[36:39]// 0000000037DC: D3F30024 1C92251A
	v_mfma_f32_16x16x32_fp8_fp8 v[36:39], a[28:29], a[20:21], v[36:39]// 0000000037E4: D3F30024 1C92291C
	v_mfma_f32_16x16x32_fp8_fp8 v[36:39], a[30:31], a[22:23], v[36:39]// 0000000037EC: D3F30024 1C922D1E
	v_mfma_f32_16x16x32_fp8_fp8 v[40:43], a[32:33], a[16:17], 0// 0000000037F4: D3F30028 1A022120
	v_mfma_f32_16x16x32_fp8_fp8 v[40:43], a[34:35], a[18:19], v[40:43]// 0000000037FC: D3F30028 1CA22522
	v_mfma_f32_16x16x32_fp8_fp8 v[40:43], a[36:37], a[20:21], v[40:43]// 000000003804: D3F30028 1CA22924
	v_mfma_f32_16x16x32_fp8_fp8 v[40:43], a[38:39], a[22:23], v[40:43]// 00000000380C: D3F30028 1CA22D26
	v_mfma_f32_16x16x32_fp8_fp8 v[44:47], a[40:41], a[16:17], 0// 000000003814: D3F3002C 1A022128
	v_mfma_f32_16x16x32_fp8_fp8 v[44:47], a[42:43], a[18:19], v[44:47]// 00000000381C: D3F3002C 1CB2252A
	v_mfma_f32_16x16x32_fp8_fp8 v[44:47], a[44:45], a[20:21], v[44:47]// 000000003824: D3F3002C 1CB2292C
	v_mfma_f32_16x16x32_fp8_fp8 v[44:47], a[46:47], a[22:23], v[44:47]// 00000000382C: D3F3002C 1CB22D2E
	v_mfma_f32_16x16x32_fp8_fp8 v[48:51], a[48:49], a[16:17], 0// 000000003834: D3F30030 1A022130
	v_mfma_f32_16x16x32_fp8_fp8 v[48:51], a[50:51], a[18:19], v[48:51]// 00000000383C: D3F30030 1CC22532
	v_mfma_f32_16x16x32_fp8_fp8 v[48:51], a[52:53], a[20:21], v[48:51]// 000000003844: D3F30030 1CC22934
	v_mfma_f32_16x16x32_fp8_fp8 v[48:51], a[54:55], a[22:23], v[48:51]// 00000000384C: D3F30030 1CC22D36
	s_waitcnt vmcnt(16)                                        // 000000003854: BF8C4F70
	v_pk_mul_f32 v[4:5], v[148:149], v[4:5]                    // 000000003858: D3B14004 18020994
	v_pk_mul_f32 v[6:7], v[148:149], v[6:7]                    // 000000003860: D3B14006 18020D94
	v_mul_f32_dpp v4, v154, v4 row_newbcast:0 row_mask:0xf bank_mask:0xf// 000000003868: 0A0808FA FF01509A
	v_mul_f32_dpp v5, v154, v5 row_newbcast:1 row_mask:0xf bank_mask:0xf// 000000003870: 0A0A0AFA FF01519A
	v_mul_f32_dpp v6, v154, v6 row_newbcast:2 row_mask:0xf bank_mask:0xf// 000000003878: 0A0C0CFA FF01529A
	v_mul_f32_dpp v7, v154, v7 row_newbcast:3 row_mask:0xf bank_mask:0xf// 000000003880: 0A0E0EFA FF01539A
	v_pk_mul_f32 v[8:9], v[148:149], v[8:9]                    // 000000003888: D3B14008 18021194
	v_pk_mul_f32 v[10:11], v[148:149], v[10:11]                // 000000003890: D3B1400A 18021594
	v_mul_f32_dpp v8, v154, v8 row_newbcast:4 row_mask:0xf bank_mask:0xf// 000000003898: 0A1010FA FF01549A
	v_mul_f32_dpp v9, v154, v9 row_newbcast:5 row_mask:0xf bank_mask:0xf// 0000000038A0: 0A1212FA FF01559A
	v_mul_f32_dpp v10, v154, v10 row_newbcast:6 row_mask:0xf bank_mask:0xf// 0000000038A8: 0A1414FA FF01569A
	v_mul_f32_dpp v11, v154, v11 row_newbcast:7 row_mask:0xf bank_mask:0xf// 0000000038B0: 0A1616FA FF01579A
	v_pk_mul_f32 v[12:13], v[148:149], v[12:13]                // 0000000038B8: D3B1400C 18021994
	v_pk_mul_f32 v[14:15], v[148:149], v[14:15]                // 0000000038C0: D3B1400E 18021D94
	v_mul_f32_dpp v12, v154, v12 row_newbcast:8 row_mask:0xf bank_mask:0xf// 0000000038C8: 0A1818FA FF01589A
	v_mul_f32_dpp v13, v154, v13 row_newbcast:9 row_mask:0xf bank_mask:0xf// 0000000038D0: 0A1A1AFA FF01599A
	v_mul_f32_dpp v14, v154, v14 row_newbcast:10 row_mask:0xf bank_mask:0xf// 0000000038D8: 0A1C1CFA FF015A9A
	v_mul_f32_dpp v15, v154, v15 row_newbcast:11 row_mask:0xf bank_mask:0xf// 0000000038E0: 0A1E1EFA FF015B9A
	v_pk_mul_f32 v[16:17], v[148:149], v[16:17]                // 0000000038E8: D3B14010 18022194
	v_pk_mul_f32 v[18:19], v[148:149], v[18:19]                // 0000000038F0: D3B14012 18022594
	v_mul_f32_dpp v16, v154, v16 row_newbcast:12 row_mask:0xf bank_mask:0xf// 0000000038F8: 0A2020FA FF015C9A
	v_mul_f32_dpp v17, v154, v17 row_newbcast:13 row_mask:0xf bank_mask:0xf// 000000003900: 0A2222FA FF015D9A
	v_mul_f32_dpp v18, v154, v18 row_newbcast:14 row_mask:0xf bank_mask:0xf// 000000003908: 0A2424FA FF015E9A
	v_mul_f32_dpp v19, v154, v19 row_newbcast:15 row_mask:0xf bank_mask:0xf// 000000003910: 0A2626FA FF015F9A
	v_pk_mul_f32 v[20:21], v[150:151], v[20:21]                // 000000003918: D3B14014 18022996
	v_pk_mul_f32 v[22:23], v[150:151], v[22:23]                // 000000003920: D3B14016 18022D96
	v_mul_f32_dpp v20, v154, v20 row_newbcast:0 row_mask:0xf bank_mask:0xf// 000000003928: 0A2828FA FF01509A
	v_mul_f32_dpp v21, v154, v21 row_newbcast:1 row_mask:0xf bank_mask:0xf// 000000003930: 0A2A2AFA FF01519A
	v_mul_f32_dpp v22, v154, v22 row_newbcast:2 row_mask:0xf bank_mask:0xf// 000000003938: 0A2C2CFA FF01529A
	v_mul_f32_dpp v23, v154, v23 row_newbcast:3 row_mask:0xf bank_mask:0xf// 000000003940: 0A2E2EFA FF01539A
	v_pk_mul_f32 v[24:25], v[150:151], v[24:25]                // 000000003948: D3B14018 18023196
	v_pk_mul_f32 v[26:27], v[150:151], v[26:27]                // 000000003950: D3B1401A 18023596
	v_mul_f32_dpp v24, v154, v24 row_newbcast:4 row_mask:0xf bank_mask:0xf// 000000003958: 0A3030FA FF01549A
	v_mul_f32_dpp v25, v154, v25 row_newbcast:5 row_mask:0xf bank_mask:0xf// 000000003960: 0A3232FA FF01559A
	v_mul_f32_dpp v26, v154, v26 row_newbcast:6 row_mask:0xf bank_mask:0xf// 000000003968: 0A3434FA FF01569A
	v_mul_f32_dpp v27, v154, v27 row_newbcast:7 row_mask:0xf bank_mask:0xf// 000000003970: 0A3636FA FF01579A
	v_pk_mul_f32 v[28:29], v[150:151], v[28:29]                // 000000003978: D3B1401C 18023996
	v_pk_mul_f32 v[30:31], v[150:151], v[30:31]                // 000000003980: D3B1401E 18023D96
	v_mul_f32_dpp v28, v154, v28 row_newbcast:8 row_mask:0xf bank_mask:0xf// 000000003988: 0A3838FA FF01589A
	v_mul_f32_dpp v29, v154, v29 row_newbcast:9 row_mask:0xf bank_mask:0xf// 000000003990: 0A3A3AFA FF01599A
	v_mul_f32_dpp v30, v154, v30 row_newbcast:10 row_mask:0xf bank_mask:0xf// 000000003998: 0A3C3CFA FF015A9A
	v_mul_f32_dpp v31, v154, v31 row_newbcast:11 row_mask:0xf bank_mask:0xf// 0000000039A0: 0A3E3EFA FF015B9A
	v_pk_mul_f32 v[32:33], v[150:151], v[32:33]                // 0000000039A8: D3B14020 18024196
	v_pk_mul_f32 v[34:35], v[150:151], v[34:35]                // 0000000039B0: D3B14022 18024596
	v_mul_f32_dpp v32, v154, v32 row_newbcast:12 row_mask:0xf bank_mask:0xf// 0000000039B8: 0A4040FA FF015C9A
	v_mul_f32_dpp v33, v154, v33 row_newbcast:13 row_mask:0xf bank_mask:0xf// 0000000039C0: 0A4242FA FF015D9A
	v_mul_f32_dpp v34, v154, v34 row_newbcast:14 row_mask:0xf bank_mask:0xf// 0000000039C8: 0A4444FA FF015E9A
	v_mul_f32_dpp v35, v154, v35 row_newbcast:15 row_mask:0xf bank_mask:0xf// 0000000039D0: 0A4646FA FF015F9A
	v_pk_mul_f32 v[36:37], v[152:153], v[36:37]                // 0000000039D8: D3B14024 18024998
	v_pk_mul_f32 v[38:39], v[152:153], v[38:39]                // 0000000039E0: D3B14026 18024D98
	v_mul_f32_dpp v36, v154, v36 row_newbcast:0 row_mask:0xf bank_mask:0xf// 0000000039E8: 0A4848FA FF01509A
	v_mul_f32_dpp v37, v154, v37 row_newbcast:1 row_mask:0xf bank_mask:0xf// 0000000039F0: 0A4A4AFA FF01519A
	v_mul_f32_dpp v38, v154, v38 row_newbcast:2 row_mask:0xf bank_mask:0xf// 0000000039F8: 0A4C4CFA FF01529A
	v_mul_f32_dpp v39, v154, v39 row_newbcast:3 row_mask:0xf bank_mask:0xf// 000000003A00: 0A4E4EFA FF01539A
	v_pk_mul_f32 v[40:41], v[152:153], v[40:41]                // 000000003A08: D3B14028 18025198
	v_pk_mul_f32 v[42:43], v[152:153], v[42:43]                // 000000003A10: D3B1402A 18025598
	v_mul_f32_dpp v40, v154, v40 row_newbcast:4 row_mask:0xf bank_mask:0xf// 000000003A18: 0A5050FA FF01549A
	v_mul_f32_dpp v41, v154, v41 row_newbcast:5 row_mask:0xf bank_mask:0xf// 000000003A20: 0A5252FA FF01559A
	v_mul_f32_dpp v42, v154, v42 row_newbcast:6 row_mask:0xf bank_mask:0xf// 000000003A28: 0A5454FA FF01569A
	v_mul_f32_dpp v43, v154, v43 row_newbcast:7 row_mask:0xf bank_mask:0xf// 000000003A30: 0A5656FA FF01579A
	v_pk_mul_f32 v[44:45], v[152:153], v[44:45]                // 000000003A38: D3B1402C 18025998
	v_pk_mul_f32 v[46:47], v[152:153], v[46:47]                // 000000003A40: D3B1402E 18025D98
	v_mul_f32_dpp v44, v154, v44 row_newbcast:8 row_mask:0xf bank_mask:0xf// 000000003A48: 0A5858FA FF01589A
	v_mul_f32_dpp v45, v154, v45 row_newbcast:9 row_mask:0xf bank_mask:0xf// 000000003A50: 0A5A5AFA FF01599A
	v_mul_f32_dpp v46, v154, v46 row_newbcast:10 row_mask:0xf bank_mask:0xf// 000000003A58: 0A5C5CFA FF015A9A
	v_mul_f32_dpp v47, v154, v47 row_newbcast:11 row_mask:0xf bank_mask:0xf// 000000003A60: 0A5E5EFA FF015B9A
	v_pk_mul_f32 v[48:49], v[152:153], v[48:49]                // 000000003A68: D3B14030 18026198
	v_pk_mul_f32 v[50:51], v[152:153], v[50:51]                // 000000003A70: D3B14032 18026598
	v_mul_f32_dpp v48, v154, v48 row_newbcast:12 row_mask:0xf bank_mask:0xf// 000000003A78: 0A6060FA FF015C9A
	v_mul_f32_dpp v49, v154, v49 row_newbcast:13 row_mask:0xf bank_mask:0xf// 000000003A80: 0A6262FA FF015D9A
	v_mul_f32_dpp v50, v154, v50 row_newbcast:14 row_mask:0xf bank_mask:0xf// 000000003A88: 0A6464FA FF015E9A
	v_mul_f32_dpp v51, v154, v51 row_newbcast:15 row_mask:0xf bank_mask:0xf// 000000003A90: 0A6666FA FF015F9A
	v_mov_b32_e32 v182, v4                                     // 000000003A98: 7F6C0304
	v_max3_f32 v182, v4, v5, v182                              // 000000003A9C: D1D300B6 06DA0B04
	v_max3_f32 v182, v6, v7, v182                              // 000000003AA4: D1D300B6 06DA0F06
	v_max3_f32 v182, v8, v9, v182                              // 000000003AAC: D1D300B6 06DA1308
	v_max3_f32 v182, v10, v11, v182                            // 000000003AB4: D1D300B6 06DA170A
	v_max3_f32 v182, v12, v13, v182                            // 000000003ABC: D1D300B6 06DA1B0C
	v_max3_f32 v182, v14, v15, v182                            // 000000003AC4: D1D300B6 06DA1F0E
	v_max3_f32 v182, v16, v17, v182                            // 000000003ACC: D1D300B6 06DA2310
	v_max3_f32 v182, v18, v19, v182                            // 000000003AD4: D1D300B6 06DA2712
	v_mov_b32_e32 v183, v20                                    // 000000003ADC: 7F6E0314
	v_max3_f32 v183, v20, v21, v183                            // 000000003AE0: D1D300B7 06DE2B14
	v_max3_f32 v183, v22, v23, v183                            // 000000003AE8: D1D300B7 06DE2F16
	v_max3_f32 v183, v24, v25, v183                            // 000000003AF0: D1D300B7 06DE3318
	v_max3_f32 v183, v26, v27, v183                            // 000000003AF8: D1D300B7 06DE371A
	v_max3_f32 v183, v28, v29, v183                            // 000000003B00: D1D300B7 06DE3B1C
	v_max3_f32 v183, v30, v31, v183                            // 000000003B08: D1D300B7 06DE3F1E
	v_max3_f32 v183, v32, v33, v183                            // 000000003B10: D1D300B7 06DE4320
	v_max3_f32 v183, v34, v35, v183                            // 000000003B18: D1D300B7 06DE4722
	v_mov_b32_e32 v184, v36                                    // 000000003B20: 7F700324
	v_max3_f32 v184, v36, v37, v184                            // 000000003B24: D1D300B8 06E24B24
	v_max3_f32 v184, v38, v39, v184                            // 000000003B2C: D1D300B8 06E24F26
	v_max3_f32 v184, v40, v41, v184                            // 000000003B34: D1D300B8 06E25328
	v_max3_f32 v184, v42, v43, v184                            // 000000003B3C: D1D300B8 06E2572A
	v_max3_f32 v184, v44, v45, v184                            // 000000003B44: D1D300B8 06E25B2C
	v_max3_f32 v184, v46, v47, v184                            // 000000003B4C: D1D300B8 06E25F2E
	v_max3_f32 v184, v48, v49, v184                            // 000000003B54: D1D300B8 06E26330
	v_max3_f32 v184, v50, v51, v184                            // 000000003B5C: D1D300B8 06E26732
	ds_bpermute_b32 v188, v208, v182                           // 000000003B64: D87E0000 BC00B6D0
	ds_bpermute_b32 v189, v209, v182                           // 000000003B6C: D87E0000 BD00B6D1
	ds_bpermute_b32 v190, v210, v182                           // 000000003B74: D87E0000 BE00B6D2
	ds_bpermute_b32 v191, v208, v183                           // 000000003B7C: D87E0000 BF00B7D0
	ds_bpermute_b32 v192, v209, v183                           // 000000003B84: D87E0000 C000B7D1
	ds_bpermute_b32 v193, v210, v183                           // 000000003B8C: D87E0000 C100B7D2
	ds_bpermute_b32 v194, v208, v184                           // 000000003B94: D87E0000 C200B8D0
	ds_bpermute_b32 v195, v209, v184                           // 000000003B9C: D87E0000 C300B8D1
	ds_bpermute_b32 v196, v210, v184                           // 000000003BA4: D87E0000 C400B8D2
	v_pk_mul_f32 v[124:125], v[170:171], v[124:125]            // 000000003BAC: D3B1407C 1802F9AA
	v_pk_mul_f32 v[126:127], v[170:171], v[126:127]            // 000000003BB4: D3B1407E 1802FDAA
	v_pk_mul_f32 v[128:129], v[170:171], v[128:129]            // 000000003BBC: D3B14080 180301AA
	v_pk_mul_f32 v[130:131], v[170:171], v[130:131]            // 000000003BC4: D3B14082 180305AA
	v_pk_mul_f32 v[132:133], v[172:173], v[132:133]            // 000000003BCC: D3B14084 180309AC
	v_pk_mul_f32 v[134:135], v[172:173], v[134:135]            // 000000003BD4: D3B14086 18030DAC
	v_pk_mul_f32 v[136:137], v[172:173], v[136:137]            // 000000003BDC: D3B14088 180311AC
	v_pk_mul_f32 v[138:139], v[172:173], v[138:139]            // 000000003BE4: D3B1408A 180315AC
	v_pk_mul_f32 v[140:141], v[174:175], v[140:141]            // 000000003BEC: D3B1408C 180319AE
	v_pk_mul_f32 v[142:143], v[174:175], v[142:143]            // 000000003BF4: D3B1408E 18031DAE
	v_pk_mul_f32 v[144:145], v[174:175], v[144:145]            // 000000003BFC: D3B14090 180321AE
	v_pk_mul_f32 v[146:147], v[174:175], v[146:147]            // 000000003C04: D3B14092 180325AE
	s_waitcnt lgkmcnt(6)                                       // 000000003C0C: BF8CC67F
	v_max3_f32 v182, v188, v189, v182                          // 000000003C10: D1D300B6 06DB7BBC
	v_max_f32_e32 v182, v190, v182                             // 000000003C18: 176D6DBE
	s_waitcnt lgkmcnt(3)                                       // 000000003C1C: BF8CC37F
	v_max3_f32 v183, v191, v192, v183                          // 000000003C20: D1D300B7 06DF81BF
	v_max_f32_e32 v183, v193, v183                             // 000000003C28: 176F6FC1
	s_waitcnt lgkmcnt(0)                                       // 000000003C2C: BF8CC07F
	v_max3_f32 v184, v194, v195, v184                          // 000000003C30: D1D300B8 06E387C2
	v_max_f32_e32 v184, v196, v184                             // 000000003C38: 177171C4
	ds_write_b128 v249, v[182:185]                             // 000000003C3C: D9BE0000 0000B6F9
	s_waitcnt lgkmcnt(0)                                       // 000000003C44: BF8CC07F
	s_barrier                                                  // 000000003C48: BF8A0000
	ds_read_b128 v[188:191], v250                              // 000000003C4C: D9FE0000 BC0000FA
	ds_read_b128 v[192:195], v250 offset:256                   // 000000003C54: D9FE0100 C00000FA
	ds_read_b128 v[196:199], v250 offset:512                   // 000000003C5C: D9FE0200 C40000FA
	ds_read_b128 v[200:203], v250 offset:768                   // 000000003C64: D9FE0300 C80000FA
	v_pk_mul_f32 v[100:101], v[158:159], v[100:101]            // 000000003C6C: D3B14064 1802C99E
	v_pk_mul_f32 v[102:103], v[158:159], v[102:103]            // 000000003C74: D3B14066 1802CD9E
	v_pk_mul_f32 v[104:105], v[158:159], v[104:105]            // 000000003C7C: D3B14068 1802D19E
	v_pk_mul_f32 v[106:107], v[158:159], v[106:107]            // 000000003C84: D3B1406A 1802D59E
	v_pk_mul_f32 v[108:109], v[160:161], v[108:109]            // 000000003C8C: D3B1406C 1802D9A0
	v_pk_mul_f32 v[110:111], v[160:161], v[110:111]            // 000000003C94: D3B1406E 1802DDA0
	v_pk_mul_f32 v[112:113], v[160:161], v[112:113]            // 000000003C9C: D3B14070 1802E1A0
	v_pk_mul_f32 v[114:115], v[160:161], v[114:115]            // 000000003CA4: D3B14072 1802E5A0
	v_pk_mul_f32 v[116:117], v[162:163], v[116:117]            // 000000003CAC: D3B14074 1802E9A2
	v_pk_mul_f32 v[118:119], v[162:163], v[118:119]            // 000000003CB4: D3B14076 1802EDA2
	v_pk_mul_f32 v[120:121], v[162:163], v[120:121]            // 000000003CBC: D3B14078 1802F1A2
	v_pk_mul_f32 v[122:123], v[162:163], v[122:123]            // 000000003CC4: D3B1407A 1802F5A2
	s_waitcnt lgkmcnt(0)                                       // 000000003CCC: BF8CC07F
	v_max3_f32 v182, v188, v192, v182                          // 000000003CD0: D1D300B6 06DB81BC
	v_max3_f32 v183, v189, v193, v183                          // 000000003CD8: D1D300B7 06DF83BD
	v_max3_f32 v184, v190, v194, v184                          // 000000003CE0: D1D300B8 06E385BE
	v_max3_f32 v182, v196, v200, v182                          // 000000003CE8: D1D300B6 06DB91C4
	v_max3_f32 v183, v197, v201, v183                          // 000000003CF0: D1D300B7 06DF93C5
	v_max3_f32 v184, v198, v202, v184                          // 000000003CF8: D1D300B8 06E395C6
	v_max_f32_e32 v167, v182, v164                             // 000000003D00: 174F49B6
	v_mul_f32_e64 v204, -s46, v167                             // 000000003D04: D10500CC 20034E2E
	v_mov_b32_e32 v205, v204                                   // 000000003D0C: 7F9A03CC
	v_pk_fma_f32 v[4:5], v[4:5], s[46:47], v[204:205]          // 000000003D10: D3B04004 1F305D04
	v_pk_fma_f32 v[6:7], v[6:7], s[46:47], v[204:205]          // 000000003D18: D3B04006 1F305D06
	v_exp_f32_e32 v4, v4                                       // 000000003D20: 7E084104
	v_exp_f32_e32 v5, v5                                       // 000000003D24: 7E0A4105
	v_exp_f32_e32 v6, v6                                       // 000000003D28: 7E0C4106
	v_exp_f32_e32 v7, v7                                       // 000000003D2C: 7E0E4107
	v_pk_fma_f32 v[8:9], v[8:9], s[46:47], v[204:205]          // 000000003D30: D3B04008 1F305D08
	v_pk_fma_f32 v[10:11], v[10:11], s[46:47], v[204:205]      // 000000003D38: D3B0400A 1F305D0A
	v_exp_f32_e32 v8, v8                                       // 000000003D40: 7E104108
	v_exp_f32_e32 v9, v9                                       // 000000003D44: 7E124109
	v_exp_f32_e32 v10, v10                                     // 000000003D48: 7E14410A
	v_exp_f32_e32 v11, v11                                     // 000000003D4C: 7E16410B
	v_pk_fma_f32 v[12:13], v[12:13], s[46:47], v[204:205]      // 000000003D50: D3B0400C 1F305D0C
	v_pk_fma_f32 v[14:15], v[14:15], s[46:47], v[204:205]      // 000000003D58: D3B0400E 1F305D0E
	v_exp_f32_e32 v12, v12                                     // 000000003D60: 7E18410C
	v_exp_f32_e32 v13, v13                                     // 000000003D64: 7E1A410D
	v_exp_f32_e32 v14, v14                                     // 000000003D68: 7E1C410E
	v_exp_f32_e32 v15, v15                                     // 000000003D6C: 7E1E410F
	v_pk_fma_f32 v[16:17], v[16:17], s[46:47], v[204:205]      // 000000003D70: D3B04010 1F305D10
	v_pk_fma_f32 v[18:19], v[18:19], s[46:47], v[204:205]      // 000000003D78: D3B04012 1F305D12
	v_exp_f32_e32 v16, v16                                     // 000000003D80: 7E204110
	v_exp_f32_e32 v17, v17                                     // 000000003D84: 7E224111
	v_exp_f32_e32 v18, v18                                     // 000000003D88: 7E244112
	v_exp_f32_e32 v19, v19                                     // 000000003D8C: 7E264113
	v_max_f32_e32 v168, v183, v165                             // 000000003D90: 17514BB7
	v_mul_f32_e64 v204, -s46, v168                             // 000000003D94: D10500CC 2003502E
	v_mov_b32_e32 v205, v204                                   // 000000003D9C: 7F9A03CC
	v_pk_fma_f32 v[20:21], v[20:21], s[46:47], v[204:205]      // 000000003DA0: D3B04014 1F305D14
	v_pk_fma_f32 v[22:23], v[22:23], s[46:47], v[204:205]      // 000000003DA8: D3B04016 1F305D16
	v_exp_f32_e32 v20, v20                                     // 000000003DB0: 7E284114
	v_exp_f32_e32 v21, v21                                     // 000000003DB4: 7E2A4115
	v_exp_f32_e32 v22, v22                                     // 000000003DB8: 7E2C4116
	v_exp_f32_e32 v23, v23                                     // 000000003DBC: 7E2E4117
	v_pk_fma_f32 v[24:25], v[24:25], s[46:47], v[204:205]      // 000000003DC0: D3B04018 1F305D18
	v_pk_fma_f32 v[26:27], v[26:27], s[46:47], v[204:205]      // 000000003DC8: D3B0401A 1F305D1A
	v_exp_f32_e32 v24, v24                                     // 000000003DD0: 7E304118
	v_exp_f32_e32 v25, v25                                     // 000000003DD4: 7E324119
	v_exp_f32_e32 v26, v26                                     // 000000003DD8: 7E34411A
	v_exp_f32_e32 v27, v27                                     // 000000003DDC: 7E36411B
	v_pk_fma_f32 v[28:29], v[28:29], s[46:47], v[204:205]      // 000000003DE0: D3B0401C 1F305D1C
	v_pk_fma_f32 v[30:31], v[30:31], s[46:47], v[204:205]      // 000000003DE8: D3B0401E 1F305D1E
	v_exp_f32_e32 v28, v28                                     // 000000003DF0: 7E38411C
	v_exp_f32_e32 v29, v29                                     // 000000003DF4: 7E3A411D
	v_exp_f32_e32 v30, v30                                     // 000000003DF8: 7E3C411E
	v_exp_f32_e32 v31, v31                                     // 000000003DFC: 7E3E411F
	v_pk_fma_f32 v[32:33], v[32:33], s[46:47], v[204:205]      // 000000003E00: D3B04020 1F305D20
	v_pk_fma_f32 v[34:35], v[34:35], s[46:47], v[204:205]      // 000000003E08: D3B04022 1F305D22
	v_exp_f32_e32 v32, v32                                     // 000000003E10: 7E404120
	v_exp_f32_e32 v33, v33                                     // 000000003E14: 7E424121
	v_exp_f32_e32 v34, v34                                     // 000000003E18: 7E444122
	v_exp_f32_e32 v35, v35                                     // 000000003E1C: 7E464123
	v_max_f32_e32 v169, v184, v166                             // 000000003E20: 17534DB8
	v_mul_f32_e64 v204, -s46, v169                             // 000000003E24: D10500CC 2003522E
	v_mov_b32_e32 v205, v204                                   // 000000003E2C: 7F9A03CC
	v_pk_fma_f32 v[36:37], v[36:37], s[46:47], v[204:205]      // 000000003E30: D3B04024 1F305D24
	v_pk_fma_f32 v[38:39], v[38:39], s[46:47], v[204:205]      // 000000003E38: D3B04026 1F305D26
	v_exp_f32_e32 v36, v36                                     // 000000003E40: 7E484124
	v_exp_f32_e32 v37, v37                                     // 000000003E44: 7E4A4125
	v_exp_f32_e32 v38, v38                                     // 000000003E48: 7E4C4126
	v_exp_f32_e32 v39, v39                                     // 000000003E4C: 7E4E4127
	v_pk_fma_f32 v[40:41], v[40:41], s[46:47], v[204:205]      // 000000003E50: D3B04028 1F305D28
	v_pk_fma_f32 v[42:43], v[42:43], s[46:47], v[204:205]      // 000000003E58: D3B0402A 1F305D2A
	v_exp_f32_e32 v40, v40                                     // 000000003E60: 7E504128
	v_exp_f32_e32 v41, v41                                     // 000000003E64: 7E524129
	v_exp_f32_e32 v42, v42                                     // 000000003E68: 7E54412A
	v_exp_f32_e32 v43, v43                                     // 000000003E6C: 7E56412B
	v_pk_fma_f32 v[44:45], v[44:45], s[46:47], v[204:205]      // 000000003E70: D3B0402C 1F305D2C
	v_pk_fma_f32 v[46:47], v[46:47], s[46:47], v[204:205]      // 000000003E78: D3B0402E 1F305D2E
	v_exp_f32_e32 v44, v44                                     // 000000003E80: 7E58412C
	v_exp_f32_e32 v45, v45                                     // 000000003E84: 7E5A412D
	v_exp_f32_e32 v46, v46                                     // 000000003E88: 7E5C412E
	v_exp_f32_e32 v47, v47                                     // 000000003E8C: 7E5E412F
	v_pk_fma_f32 v[48:49], v[48:49], s[46:47], v[204:205]      // 000000003E90: D3B04030 1F305D30
	v_pk_fma_f32 v[50:51], v[50:51], s[46:47], v[204:205]      // 000000003E98: D3B04032 1F305D32
	v_exp_f32_e32 v48, v48                                     // 000000003EA0: 7E604130
	v_exp_f32_e32 v49, v49                                     // 000000003EA4: 7E624131
	v_exp_f32_e32 v50, v50                                     // 000000003EA8: 7E644132
	v_exp_f32_e32 v51, v51                                     // 000000003EAC: 7E664133
	v_mul_f32_dpp v52, v156, v4 row_newbcast:0 row_mask:0xf bank_mask:0xf// 000000003EB0: 0A6808FA FF01509C
	v_mul_f32_dpp v53, v156, v5 row_newbcast:1 row_mask:0xf bank_mask:0xf// 000000003EB8: 0A6A0AFA FF01519C
	v_mul_f32_dpp v54, v156, v6 row_newbcast:2 row_mask:0xf bank_mask:0xf// 000000003EC0: 0A6C0CFA FF01529C
	v_mul_f32_dpp v55, v156, v7 row_newbcast:3 row_mask:0xf bank_mask:0xf// 000000003EC8: 0A6E0EFA FF01539C
	v_mul_f32_dpp v56, v156, v8 row_newbcast:4 row_mask:0xf bank_mask:0xf// 000000003ED0: 0A7010FA FF01549C
	v_mul_f32_dpp v57, v156, v9 row_newbcast:5 row_mask:0xf bank_mask:0xf// 000000003ED8: 0A7212FA FF01559C
	v_mul_f32_dpp v58, v156, v10 row_newbcast:6 row_mask:0xf bank_mask:0xf// 000000003EE0: 0A7414FA FF01569C
	v_mul_f32_dpp v59, v156, v11 row_newbcast:7 row_mask:0xf bank_mask:0xf// 000000003EE8: 0A7616FA FF01579C
	v_mul_f32_dpp v60, v156, v12 row_newbcast:8 row_mask:0xf bank_mask:0xf// 000000003EF0: 0A7818FA FF01589C
	v_mul_f32_dpp v61, v156, v13 row_newbcast:9 row_mask:0xf bank_mask:0xf// 000000003EF8: 0A7A1AFA FF01599C
	v_mul_f32_dpp v62, v156, v14 row_newbcast:10 row_mask:0xf bank_mask:0xf// 000000003F00: 0A7C1CFA FF015A9C
	v_mul_f32_dpp v63, v156, v15 row_newbcast:11 row_mask:0xf bank_mask:0xf// 000000003F08: 0A7E1EFA FF015B9C
	v_mul_f32_dpp v64, v156, v16 row_newbcast:12 row_mask:0xf bank_mask:0xf// 000000003F10: 0A8020FA FF015C9C
	v_mul_f32_dpp v65, v156, v17 row_newbcast:13 row_mask:0xf bank_mask:0xf// 000000003F18: 0A8222FA FF015D9C
	v_mul_f32_dpp v66, v156, v18 row_newbcast:14 row_mask:0xf bank_mask:0xf// 000000003F20: 0A8424FA FF015E9C
	v_mul_f32_dpp v67, v156, v19 row_newbcast:15 row_mask:0xf bank_mask:0xf// 000000003F28: 0A8626FA FF015F9C
	v_mul_f32_dpp v68, v156, v20 row_newbcast:0 row_mask:0xf bank_mask:0xf// 000000003F30: 0A8828FA FF01509C
	v_mul_f32_dpp v69, v156, v21 row_newbcast:1 row_mask:0xf bank_mask:0xf// 000000003F38: 0A8A2AFA FF01519C
	v_mul_f32_dpp v70, v156, v22 row_newbcast:2 row_mask:0xf bank_mask:0xf// 000000003F40: 0A8C2CFA FF01529C
	v_mul_f32_dpp v71, v156, v23 row_newbcast:3 row_mask:0xf bank_mask:0xf// 000000003F48: 0A8E2EFA FF01539C
	v_mul_f32_dpp v72, v156, v24 row_newbcast:4 row_mask:0xf bank_mask:0xf// 000000003F50: 0A9030FA FF01549C
	v_mul_f32_dpp v73, v156, v25 row_newbcast:5 row_mask:0xf bank_mask:0xf// 000000003F58: 0A9232FA FF01559C
	v_mul_f32_dpp v74, v156, v26 row_newbcast:6 row_mask:0xf bank_mask:0xf// 000000003F60: 0A9434FA FF01569C
	v_mul_f32_dpp v75, v156, v27 row_newbcast:7 row_mask:0xf bank_mask:0xf// 000000003F68: 0A9636FA FF01579C
	v_mul_f32_dpp v76, v156, v28 row_newbcast:8 row_mask:0xf bank_mask:0xf// 000000003F70: 0A9838FA FF01589C
	v_mul_f32_dpp v77, v156, v29 row_newbcast:9 row_mask:0xf bank_mask:0xf// 000000003F78: 0A9A3AFA FF01599C
	v_mul_f32_dpp v78, v156, v30 row_newbcast:10 row_mask:0xf bank_mask:0xf// 000000003F80: 0A9C3CFA FF015A9C
	v_mul_f32_dpp v79, v156, v31 row_newbcast:11 row_mask:0xf bank_mask:0xf// 000000003F88: 0A9E3EFA FF015B9C
	v_mul_f32_dpp v80, v156, v32 row_newbcast:12 row_mask:0xf bank_mask:0xf// 000000003F90: 0AA040FA FF015C9C
	v_mul_f32_dpp v81, v156, v33 row_newbcast:13 row_mask:0xf bank_mask:0xf// 000000003F98: 0AA242FA FF015D9C
	v_mul_f32_dpp v82, v156, v34 row_newbcast:14 row_mask:0xf bank_mask:0xf// 000000003FA0: 0AA444FA FF015E9C
	v_mul_f32_dpp v83, v156, v35 row_newbcast:15 row_mask:0xf bank_mask:0xf// 000000003FA8: 0AA646FA FF015F9C
	v_mul_f32_dpp v84, v156, v36 row_newbcast:0 row_mask:0xf bank_mask:0xf// 000000003FB0: 0AA848FA FF01509C
	v_mul_f32_dpp v85, v156, v37 row_newbcast:1 row_mask:0xf bank_mask:0xf// 000000003FB8: 0AAA4AFA FF01519C
	v_mul_f32_dpp v86, v156, v38 row_newbcast:2 row_mask:0xf bank_mask:0xf// 000000003FC0: 0AAC4CFA FF01529C
	v_mul_f32_dpp v87, v156, v39 row_newbcast:3 row_mask:0xf bank_mask:0xf// 000000003FC8: 0AAE4EFA FF01539C
	v_mul_f32_dpp v88, v156, v40 row_newbcast:4 row_mask:0xf bank_mask:0xf// 000000003FD0: 0AB050FA FF01549C
	v_mul_f32_dpp v89, v156, v41 row_newbcast:5 row_mask:0xf bank_mask:0xf// 000000003FD8: 0AB252FA FF01559C
	v_mul_f32_dpp v90, v156, v42 row_newbcast:6 row_mask:0xf bank_mask:0xf// 000000003FE0: 0AB454FA FF01569C
	v_mul_f32_dpp v91, v156, v43 row_newbcast:7 row_mask:0xf bank_mask:0xf// 000000003FE8: 0AB656FA FF01579C
	v_mul_f32_dpp v92, v156, v44 row_newbcast:8 row_mask:0xf bank_mask:0xf// 000000003FF0: 0AB858FA FF01589C
	v_mul_f32_dpp v93, v156, v45 row_newbcast:9 row_mask:0xf bank_mask:0xf// 000000003FF8: 0ABA5AFA FF01599C
	v_mul_f32_dpp v94, v156, v46 row_newbcast:10 row_mask:0xf bank_mask:0xf// 000000004000: 0ABC5CFA FF015A9C
	v_mul_f32_dpp v95, v156, v47 row_newbcast:11 row_mask:0xf bank_mask:0xf// 000000004008: 0ABE5EFA FF015B9C
	v_mul_f32_dpp v96, v156, v48 row_newbcast:12 row_mask:0xf bank_mask:0xf// 000000004010: 0AC060FA FF015C9C
	v_mul_f32_dpp v97, v156, v49 row_newbcast:13 row_mask:0xf bank_mask:0xf// 000000004018: 0AC262FA FF015D9C
	v_mul_f32_dpp v98, v156, v50 row_newbcast:14 row_mask:0xf bank_mask:0xf// 000000004020: 0AC464FA FF015E9C
	v_mul_f32_dpp v99, v156, v51 row_newbcast:15 row_mask:0xf bank_mask:0xf// 000000004028: 0AC666FA FF015F9C
	buffer_load_dword v155, v235, s[20:23], 0 offen            // 000000004030: E0501000 80059BEB
	v_sub_f32_e32 v170, v164, v167                             // 000000004038: 05554FA4
	v_cmp_eq_u32_e64 s[98:99], v222, v164                      // 00000000403C: D0CA0062 000349DE
	v_cndmask_b32_e64 v170, v170, 0, s[98:99]                  // 000000004044: D10000AA 018901AA
	v_mov_b32_e32 v164, v167                                   // 00000000404C: 7F4803A7
	v_mul_f32_e32 v170, s46, v170                              // 000000004050: 0B55542E
	v_exp_f32_e32 v170, v170                                   // 000000004054: 7F5441AA
	v_sub_f32_e32 v172, v165, v168                             // 000000004058: 055951A5
	v_cmp_eq_u32_e64 s[98:99], v222, v165                      // 00000000405C: D0CA0062 00034BDE
	v_cndmask_b32_e64 v172, v172, 0, s[98:99]                  // 000000004064: D10000AC 018901AC
	v_mov_b32_e32 v165, v168                                   // 00000000406C: 7F4A03A8
	v_mul_f32_e32 v172, s46, v172                              // 000000004070: 0B59582E
	v_exp_f32_e32 v172, v172                                   // 000000004074: 7F5841AC
	v_sub_f32_e32 v174, v166, v169                             // 000000004078: 055D53A6
	v_cmp_eq_u32_e64 s[98:99], v222, v166                      // 00000000407C: D0CA0062 00034DDE
	v_cndmask_b32_e64 v174, v174, 0, s[98:99]                  // 000000004084: D10000AE 018901AE
	v_mov_b32_e32 v166, v169                                   // 00000000408C: 7F4C03A9
	v_mul_f32_e32 v174, s46, v174                              // 000000004090: 0B5D5C2E
	v_exp_f32_e32 v174, v174                                   // 000000004094: 7F5C41AE
	v_mov_b32_e32 v171, v170                                   // 000000004098: 7F5603AA
	v_mov_b32_e32 v173, v172                                   // 00000000409C: 7F5A03AC
	v_mov_b32_e32 v175, v174                                   // 0000000040A0: 7F5E03AE
	s_waitcnt lgkmcnt(0)                                       // 0000000040A4: BF8CC07F
	s_barrier                                                  // 0000000040A8: BF8A0000
	buffer_load_dword v157, v236, s[24:27], 0 offen            // 0000000040AC: E0501000 80069DEC
	v_mul_f32_e32 v176, v170, v176                             // 0000000040B4: 0B6161AA
	v_mov_b32_e32 v177, 0                                      // 0000000040B8: 7F620280
	v_pk_add_f32 v[176:177], v[4:5], v[176:177]                // 0000000040BC: D3B240B0 18036104
	v_pk_add_f32 v[176:177], v[6:7], v[176:177]                // 0000000040C4: D3B240B0 18036106
	v_pk_add_f32 v[176:177], v[8:9], v[176:177]                // 0000000040CC: D3B240B0 18036108
	v_pk_add_f32 v[176:177], v[10:11], v[176:177]              // 0000000040D4: D3B240B0 1803610A
	v_pk_add_f32 v[176:177], v[12:13], v[176:177]              // 0000000040DC: D3B240B0 1803610C
	v_pk_add_f32 v[176:177], v[14:15], v[176:177]              // 0000000040E4: D3B240B0 1803610E
	v_pk_add_f32 v[176:177], v[16:17], v[176:177]              // 0000000040EC: D3B240B0 18036110
	v_pk_add_f32 v[176:177], v[18:19], v[176:177]              // 0000000040F4: D3B240B0 18036112
	v_add_f32_e32 v176, v177, v176                             // 0000000040FC: 036161B1
	v_mul_f32_e32 v178, v172, v178                             // 000000004100: 0B6565AC
	v_mov_b32_e32 v179, 0                                      // 000000004104: 7F660280
	v_pk_add_f32 v[178:179], v[20:21], v[178:179]              // 000000004108: D3B240B2 18036514
	v_pk_add_f32 v[178:179], v[22:23], v[178:179]              // 000000004110: D3B240B2 18036516
	;; [unrolled: 1-line block ×3, first 2 shown]
	v_pk_add_f32 v[178:179], v[26:27], v[178:179]              // 000000004120: D3B240B2 1803651A
	v_pk_add_f32 v[178:179], v[28:29], v[178:179]              // 000000004128: D3B240B2 1803651C
	v_pk_add_f32 v[178:179], v[30:31], v[178:179]              // 000000004130: D3B240B2 1803651E
	v_pk_add_f32 v[178:179], v[32:33], v[178:179]              // 000000004138: D3B240B2 18036520
	v_pk_add_f32 v[178:179], v[34:35], v[178:179]              // 000000004140: D3B240B2 18036522
	v_add_f32_e32 v178, v179, v178                             // 000000004148: 036565B3
	v_mul_f32_e32 v180, v174, v180                             // 00000000414C: 0B6969AE
	v_mov_b32_e32 v181, 0                                      // 000000004150: 7F6A0280
	v_pk_add_f32 v[180:181], v[36:37], v[180:181]              // 000000004154: D3B240B4 18036924
	v_pk_add_f32 v[180:181], v[38:39], v[180:181]              // 00000000415C: D3B240B4 18036926
	v_pk_add_f32 v[180:181], v[40:41], v[180:181]              // 000000004164: D3B240B4 18036928
	v_pk_add_f32 v[180:181], v[42:43], v[180:181]              // 00000000416C: D3B240B4 1803692A
	v_pk_add_f32 v[180:181], v[44:45], v[180:181]              // 000000004174: D3B240B4 1803692C
	v_pk_add_f32 v[180:181], v[46:47], v[180:181]              // 00000000417C: D3B240B4 1803692E
	v_pk_add_f32 v[180:181], v[48:49], v[180:181]              // 000000004184: D3B240B4 18036930
	v_pk_add_f32 v[180:181], v[50:51], v[180:181]              // 00000000418C: D3B240B4 18036932
	v_add_f32_e32 v180, v181, v180                             // 000000004194: 036969B5
	s_waitcnt lgkmcnt(0)                                       // 000000004198: BF8CC07F
	v_sub_f32_e32 v182, v182, v164                             // 00000000419C: 056D49B6
	v_sub_f32_e32 v183, v183, v165                             // 0000000041A0: 056F4BB7
	v_sub_f32_e32 v184, v184, v166                             // 0000000041A4: 05714DB8
	v_mul_f32_e32 v182, s46, v182                              // 0000000041A8: 0B6D6C2E
	v_mul_f32_e32 v183, s46, v183                              // 0000000041AC: 0B6F6E2E
	v_mul_f32_e32 v184, s46, v184                              // 0000000041B0: 0B71702E
	v_exp_f32_e32 v182, v182                                   // 0000000041B4: 7F6C41B6
	v_exp_f32_e32 v183, v183                                   // 0000000041B8: 7F6E41B7
	v_exp_f32_e32 v184, v184                                   // 0000000041BC: 7F7041B8
	v_mul_f32_e32 v182, v156, v182                             // 0000000041C0: 0B6D6D9C
	v_mul_f32_e32 v183, v156, v183                             // 0000000041C4: 0B6F6F9C
	v_mul_f32_e32 v184, v156, v184                             // 0000000041C8: 0B71719C
	v_add_f32_e32 v182, 0x3089705f, v182                       // 0000000041CC: 036D6CFF 3089705F
	v_add_f32_e32 v183, 0x3089705f, v183                       // 0000000041D4: 036F6EFF 3089705F
	v_add_f32_e32 v184, 0x3089705f, v184                       // 0000000041DC: 037170FF 3089705F
	v_rcp_f32_e32 v182, v182                                   // 0000000041E4: 7F6C45B6
	v_rcp_f32_e32 v183, v183                                   // 0000000041E8: 7F6E45B7
	v_rcp_f32_e32 v184, v184                                   // 0000000041EC: 7F7045B8
	v_mul_f32_e32 v182, 0x43700000, v182                       // 0000000041F0: 0B6D6CFF 43700000
	v_mul_f32_e32 v183, 0x43700000, v183                       // 0000000041F8: 0B6F6EFF 43700000
	v_mul_f32_e32 v184, 0x43700000, v184                       // 000000004200: 0B7170FF 43700000
	v_mov_b32_e32 v186, v184                                   // 000000004208: 7F7403B8
	v_mov_b32_e32 v187, v184                                   // 00000000420C: 7F7603B8
	v_mov_b32_e32 v184, v183                                   // 000000004210: 7F7003B7
	v_mov_b32_e32 v185, v183                                   // 000000004214: 7F7203B7
	v_mov_b32_e32 v183, v182                                   // 000000004218: 7F6E03B6
	v_pk_mul_f32 v[4:5], v[182:183], v[52:53]                  // 00000000421C: D3B14004 180269B6
	v_pk_mul_f32 v[6:7], v[182:183], v[54:55]                  // 000000004224: D3B14006 18026DB6
	v_pk_mul_f32 v[8:9], v[182:183], v[56:57]                  // 00000000422C: D3B14008 180271B6
	v_pk_mul_f32 v[10:11], v[182:183], v[58:59]                // 000000004234: D3B1400A 180275B6
	v_pk_mul_f32 v[12:13], v[182:183], v[60:61]                // 00000000423C: D3B1400C 180279B6
	v_pk_mul_f32 v[14:15], v[182:183], v[62:63]                // 000000004244: D3B1400E 18027DB6
	v_pk_mul_f32 v[16:17], v[182:183], v[64:65]                // 00000000424C: D3B14010 180281B6
	v_pk_mul_f32 v[18:19], v[182:183], v[66:67]                // 000000004254: D3B14012 180285B6
	v_pk_mul_f32 v[20:21], v[184:185], v[68:69]                // 00000000425C: D3B14014 180289B8
	v_pk_mul_f32 v[22:23], v[184:185], v[70:71]                // 000000004264: D3B14016 18028DB8
	v_pk_mul_f32 v[24:25], v[184:185], v[72:73]                // 00000000426C: D3B14018 180291B8
	v_pk_mul_f32 v[26:27], v[184:185], v[74:75]                // 000000004274: D3B1401A 180295B8
	v_pk_mul_f32 v[28:29], v[184:185], v[76:77]                // 00000000427C: D3B1401C 180299B8
	v_pk_mul_f32 v[30:31], v[184:185], v[78:79]                // 000000004284: D3B1401E 18029DB8
	v_pk_mul_f32 v[32:33], v[184:185], v[80:81]                // 00000000428C: D3B14020 1802A1B8
	v_pk_mul_f32 v[34:35], v[184:185], v[82:83]                // 000000004294: D3B14022 1802A5B8
	v_pk_mul_f32 v[36:37], v[186:187], v[84:85]                // 00000000429C: D3B14024 1802A9BA
	v_pk_mul_f32 v[38:39], v[186:187], v[86:87]                // 0000000042A4: D3B14026 1802ADBA
	v_pk_mul_f32 v[40:41], v[186:187], v[88:89]                // 0000000042AC: D3B14028 1802B1BA
	v_pk_mul_f32 v[42:43], v[186:187], v[90:91]                // 0000000042B4: D3B1402A 1802B5BA
	v_pk_mul_f32 v[44:45], v[186:187], v[92:93]                // 0000000042BC: D3B1402C 1802B9BA
	v_pk_mul_f32 v[46:47], v[186:187], v[94:95]                // 0000000042C4: D3B1402E 1802BDBA
	v_pk_mul_f32 v[48:49], v[186:187], v[96:97]                // 0000000042CC: D3B14030 1802C1BA
	v_pk_mul_f32 v[50:51], v[186:187], v[98:99]                // 0000000042D4: D3B14032 1802C5BA
	v_cvt_pk_fp8_f32 v4, v4, v5                                // 0000000042DC: D2A20004 00020B04
	v_cvt_pk_fp8_f32 v4, v6, v7 op_sel:[0,0,1]                 // 0000000042E4: D2A24004 00020F06
	v_cvt_pk_fp8_f32 v5, v8, v9                                // 0000000042EC: D2A20005 00021308
	v_cvt_pk_fp8_f32 v5, v10, v11 op_sel:[0,0,1]               // 0000000042F4: D2A24005 0002170A
	v_cvt_pk_fp8_f32 v6, v12, v13                              // 0000000042FC: D2A20006 00021B0C
	v_cvt_pk_fp8_f32 v6, v14, v15 op_sel:[0,0,1]               // 000000004304: D2A24006 00021F0E
	v_cvt_pk_fp8_f32 v7, v16, v17                              // 00000000430C: D2A20007 00022310
	v_cvt_pk_fp8_f32 v7, v18, v19 op_sel:[0,0,1]               // 000000004314: D2A24007 00022712
	v_cvt_pk_fp8_f32 v8, v20, v21                              // 00000000431C: D2A20008 00022B14
	v_cvt_pk_fp8_f32 v8, v22, v23 op_sel:[0,0,1]               // 000000004324: D2A24008 00022F16
	v_cvt_pk_fp8_f32 v9, v24, v25                              // 00000000432C: D2A20009 00023318
	v_cvt_pk_fp8_f32 v9, v26, v27 op_sel:[0,0,1]               // 000000004334: D2A24009 0002371A
	v_cvt_pk_fp8_f32 v10, v28, v29                             // 00000000433C: D2A2000A 00023B1C
	v_cvt_pk_fp8_f32 v10, v30, v31 op_sel:[0,0,1]              // 000000004344: D2A2400A 00023F1E
	v_cvt_pk_fp8_f32 v11, v32, v33                             // 00000000434C: D2A2000B 00024320
	v_cvt_pk_fp8_f32 v11, v34, v35 op_sel:[0,0,1]              // 000000004354: D2A2400B 00024722
	v_cvt_pk_fp8_f32 v12, v36, v37                             // 00000000435C: D2A2000C 00024B24
	v_cvt_pk_fp8_f32 v12, v38, v39 op_sel:[0,0,1]              // 000000004364: D2A2400C 00024F26
	v_cvt_pk_fp8_f32 v13, v40, v41                             // 00000000436C: D2A2000D 00025328
	v_cvt_pk_fp8_f32 v13, v42, v43 op_sel:[0,0,1]              // 000000004374: D2A2400D 0002572A
	v_cvt_pk_fp8_f32 v14, v44, v45                             // 00000000437C: D2A2000E 00025B2C
	v_cvt_pk_fp8_f32 v14, v46, v47 op_sel:[0,0,1]              // 000000004384: D2A2400E 00025F2E
	v_cvt_pk_fp8_f32 v15, v48, v49                             // 00000000438C: D2A2000F 00026330
	v_cvt_pk_fp8_f32 v15, v50, v51 op_sel:[0,0,1]              // 000000004394: D2A2400F 00026732
	ds_write_b32 v251, v4 offset:8192                          // 00000000439C: D81A2000 000004FB
	ds_write_b32 v251, v5 offset:9216                          // 0000000043A4: D81A2400 000005FB
	ds_write_b32 v251, v6 offset:10240                         // 0000000043AC: D81A2800 000006FB
	ds_write_b32 v251, v7 offset:11264                         // 0000000043B4: D81A2C00 000007FB
	ds_write_b32 v251, v8 offset:12288                         // 0000000043BC: D81A3000 000008FB
	ds_write_b32 v251, v9 offset:13312                         // 0000000043C4: D81A3400 000009FB
	ds_write_b32 v251, v10 offset:14336                        // 0000000043CC: D81A3800 00000AFB
	ds_write_b32 v251, v11 offset:15360                        // 0000000043D4: D81A3C00 00000BFB
	ds_write_b32 v251, v12 offset:16384                        // 0000000043DC: D81A4000 00000CFB
	ds_write_b32 v251, v13 offset:17408                        // 0000000043E4: D81A4400 00000DFB
	ds_write_b32 v251, v14 offset:18432                        // 0000000043EC: D81A4800 00000EFB
	ds_write_b32 v251, v15 offset:19456                        // 0000000043F4: D81A4C00 00000FFB
	v_rcp_f32_e32 v158, v182                                   // 0000000043FC: 7F3C45B6
	v_rcp_f32_e32 v160, v184                                   // 000000004400: 7F4045B8
	v_rcp_f32_e32 v162, v186                                   // 000000004404: 7F4445BA
	v_mov_b32_e32 v159, v158                                   // 000000004408: 7F3E039E
	v_mov_b32_e32 v161, v160                                   // 00000000440C: 7F4203A0
	v_mov_b32_e32 v163, v162                                   // 000000004410: 7F4603A2
	v_pk_add_f32 v[124:125], v[124:125], v[100:101]            // 000000004414: D3B2407C 1802C97C
	v_pk_add_f32 v[126:127], v[126:127], v[102:103]            // 00000000441C: D3B2407E 1802CD7E
	v_pk_add_f32 v[128:129], v[128:129], v[104:105]            // 000000004424: D3B24080 1802D180
	v_pk_add_f32 v[130:131], v[130:131], v[106:107]            // 00000000442C: D3B24082 1802D582
	v_pk_add_f32 v[132:133], v[132:133], v[108:109]            // 000000004434: D3B24084 1802D984
	v_pk_add_f32 v[134:135], v[134:135], v[110:111]            // 00000000443C: D3B24086 1802DD86
	v_pk_add_f32 v[136:137], v[136:137], v[112:113]            // 000000004444: D3B24088 1802E188
	v_pk_add_f32 v[138:139], v[138:139], v[114:115]            // 00000000444C: D3B2408A 1802E58A
	v_pk_add_f32 v[140:141], v[140:141], v[116:117]            // 000000004454: D3B2408C 1802E98C
	v_pk_add_f32 v[142:143], v[142:143], v[118:119]            // 00000000445C: D3B2408E 1802ED8E
	v_pk_add_f32 v[144:145], v[144:145], v[120:121]            // 000000004464: D3B24090 1802F190
	v_pk_add_f32 v[146:147], v[146:147], v[122:123]            // 00000000446C: D3B24092 1802F592
	s_waitcnt lgkmcnt(0)                                       // 000000004474: BF8CC07F
	s_barrier                                                  // 000000004478: BF8A0000
	ds_read_b128 v[4:7], v252 offset:8192                      // 00000000447C: D9FE2000 040000FC
	ds_read_b128 v[8:11], v252 offset:9216                     // 000000004484: D9FE2400 080000FC
	ds_read_b128 v[12:15], v252 offset:10240                   // 00000000448C: D9FE2800 0C0000FC
	ds_read_b128 v[16:19], v252 offset:11264                   // 000000004494: D9FE2C00 100000FC
	ds_read_b128 v[20:23], v252 offset:12288                   // 00000000449C: D9FE3000 140000FC
	ds_read_b128 v[24:27], v252 offset:13312                   // 0000000044A4: D9FE3400 180000FC
	ds_read_b128 v[28:31], v252 offset:14336                   // 0000000044AC: D9FE3800 1C0000FC
	ds_read_b128 v[32:35], v252 offset:15360                   // 0000000044B4: D9FE3C00 200000FC
	ds_read_b128 v[36:39], v252 offset:16384                   // 0000000044BC: D9FE4000 240000FC
	ds_read_b128 v[40:43], v252 offset:17408                   // 0000000044C4: D9FE4400 280000FC
	ds_read_b128 v[44:47], v252 offset:18432                   // 0000000044CC: D9FE4800 2C0000FC
	ds_read_b128 v[48:51], v252 offset:19456                   // 0000000044D4: D9FE4C00 300000FC
	s_waitcnt vmcnt(10)                                        // 0000000044DC: BF8C0F7A
	s_waitcnt lgkmcnt(11)                                      // 0000000044E0: BF8CCB7F
	v_mfma_f32_16x16x32_fp8_fp8 v[100:103], a[88:89], v[4:5], 0// 0000000044E4: D3F30064 0A020958
	v_mfma_f32_16x16x32_fp8_fp8 v[104:107], a[104:105], v[4:5], 0// 0000000044EC: D3F30068 0A020968
	v_mfma_f32_16x16x32_fp8_fp8 v[100:103], a[90:91], v[6:7], v[100:103]// 0000000044F4: D3F30064 0D920D5A
	buffer_load_dwordx4 a[120:123], v231, s[16:19], 0 offen    // 0000000044FC: E05C1000 808478E7
	v_mfma_f32_16x16x32_fp8_fp8 v[104:107], a[106:107], v[6:7], v[104:107]// 000000004504: D3F30068 0DA20D6A
	s_waitcnt lgkmcnt(10)                                      // 00000000450C: BF8CCA7F
	v_mfma_f32_16x16x32_fp8_fp8 v[100:103], a[92:93], v[8:9], v[100:103]// 000000004510: D3F30064 0D92115C
	v_mfma_f32_16x16x32_fp8_fp8 v[104:107], a[108:109], v[8:9], v[104:107]// 000000004518: D3F30068 0DA2116C
	v_mfma_f32_16x16x32_fp8_fp8 v[100:103], a[94:95], v[10:11], v[100:103]// 000000004520: D3F30064 0D92155E
	buffer_load_dwordx4 a[124:127], v232, s[16:19], 0 offen    // 000000004528: E05C1000 80847CE8
	v_mfma_f32_16x16x32_fp8_fp8 v[104:107], a[110:111], v[10:11], v[104:107]// 000000004530: D3F30068 0DA2156E
	s_waitcnt lgkmcnt(9)                                       // 000000004538: BF8CC97F
	v_mfma_f32_16x16x32_fp8_fp8 v[100:103], a[96:97], v[12:13], v[100:103]// 00000000453C: D3F30064 0D921960
	v_mfma_f32_16x16x32_fp8_fp8 v[104:107], a[112:113], v[12:13], v[104:107]// 000000004544: D3F30068 0DA21970
	v_mfma_f32_16x16x32_fp8_fp8 v[100:103], a[98:99], v[14:15], v[100:103]// 00000000454C: D3F30064 0D921D62
	buffer_load_dwordx4 a[128:131], v233, s[16:19], 0 offen    // 000000004554: E05C1000 808480E9
	v_mfma_f32_16x16x32_fp8_fp8 v[104:107], a[114:115], v[14:15], v[104:107]// 00000000455C: D3F30068 0DA21D72
	s_waitcnt lgkmcnt(8)                                       // 000000004564: BF8CC87F
	v_mfma_f32_16x16x32_fp8_fp8 v[100:103], a[100:101], v[16:17], v[100:103]// 000000004568: D3F30064 0D922164
	v_mfma_f32_16x16x32_fp8_fp8 v[104:107], a[116:117], v[16:17], v[104:107]// 000000004570: D3F30068 0DA22174
	v_mfma_f32_16x16x32_fp8_fp8 v[100:103], a[102:103], v[18:19], v[100:103]// 000000004578: D3F30064 0D922566
	buffer_load_dwordx4 a[132:135], v234, s[16:19], 0 offen    // 000000004580: E05C1000 808484EA
	v_mfma_f32_16x16x32_fp8_fp8 v[104:107], a[118:119], v[18:19], v[104:107]// 000000004588: D3F30068 0DA22576
	s_waitcnt lgkmcnt(7)                                       // 000000004590: BF8CC77F
	v_mfma_f32_16x16x32_fp8_fp8 v[108:111], a[88:89], v[20:21], 0// 000000004594: D3F3006C 0A022958
	v_mfma_f32_16x16x32_fp8_fp8 v[112:115], a[104:105], v[20:21], 0// 00000000459C: D3F30070 0A022968
	v_mfma_f32_16x16x32_fp8_fp8 v[108:111], a[90:91], v[22:23], v[108:111]// 0000000045A4: D3F3006C 0DB22D5A
	buffer_load_dwordx4 a[136:139], v231, s[16:19], 0 offen offset:1024// 0000000045AC: E05C1400 808488E7
	v_mfma_f32_16x16x32_fp8_fp8 v[112:115], a[106:107], v[22:23], v[112:115]// 0000000045B4: D3F30070 0DC22D6A
	s_waitcnt lgkmcnt(6)                                       // 0000000045BC: BF8CC67F
	v_mfma_f32_16x16x32_fp8_fp8 v[108:111], a[92:93], v[24:25], v[108:111]// 0000000045C0: D3F3006C 0DB2315C
	v_mfma_f32_16x16x32_fp8_fp8 v[112:115], a[108:109], v[24:25], v[112:115]// 0000000045C8: D3F30070 0DC2316C
	v_mfma_f32_16x16x32_fp8_fp8 v[108:111], a[94:95], v[26:27], v[108:111]// 0000000045D0: D3F3006C 0DB2355E
	buffer_load_dwordx4 a[140:143], v232, s[16:19], 0 offen offset:1024// 0000000045D8: E05C1400 80848CE8
	v_mfma_f32_16x16x32_fp8_fp8 v[112:115], a[110:111], v[26:27], v[112:115]// 0000000045E0: D3F30070 0DC2356E
	s_waitcnt lgkmcnt(5)                                       // 0000000045E8: BF8CC57F
	v_mfma_f32_16x16x32_fp8_fp8 v[108:111], a[96:97], v[28:29], v[108:111]// 0000000045EC: D3F3006C 0DB23960
	v_mfma_f32_16x16x32_fp8_fp8 v[112:115], a[112:113], v[28:29], v[112:115]// 0000000045F4: D3F30070 0DC23970
	v_mfma_f32_16x16x32_fp8_fp8 v[108:111], a[98:99], v[30:31], v[108:111]// 0000000045FC: D3F3006C 0DB23D62
	buffer_load_dwordx4 a[144:147], v233, s[16:19], 0 offen offset:1024// 000000004604: E05C1400 808490E9
	v_mfma_f32_16x16x32_fp8_fp8 v[112:115], a[114:115], v[30:31], v[112:115]// 00000000460C: D3F30070 0DC23D72
	s_waitcnt lgkmcnt(4)                                       // 000000004614: BF8CC47F
	v_mfma_f32_16x16x32_fp8_fp8 v[108:111], a[100:101], v[32:33], v[108:111]// 000000004618: D3F3006C 0DB24164
	v_mfma_f32_16x16x32_fp8_fp8 v[112:115], a[116:117], v[32:33], v[112:115]// 000000004620: D3F30070 0DC24174
	v_mfma_f32_16x16x32_fp8_fp8 v[108:111], a[102:103], v[34:35], v[108:111]// 000000004628: D3F3006C 0DB24566
	buffer_load_dwordx4 a[148:151], v234, s[16:19], 0 offen offset:1024// 000000004630: E05C1400 808494EA
	v_mfma_f32_16x16x32_fp8_fp8 v[112:115], a[118:119], v[34:35], v[112:115]// 000000004638: D3F30070 0DC24576
	s_waitcnt lgkmcnt(3)                                       // 000000004640: BF8CC37F
	v_mfma_f32_16x16x32_fp8_fp8 v[116:119], a[88:89], v[36:37], 0// 000000004644: D3F30074 0A024958
	v_mfma_f32_16x16x32_fp8_fp8 v[120:123], a[104:105], v[36:37], 0// 00000000464C: D3F30078 0A024968
	v_mfma_f32_16x16x32_fp8_fp8 v[116:119], a[90:91], v[38:39], v[116:119]// 000000004654: D3F30074 0DD24D5A
	v_mfma_f32_16x16x32_fp8_fp8 v[120:123], a[106:107], v[38:39], v[120:123]// 00000000465C: D3F30078 0DE24D6A
	s_waitcnt lgkmcnt(2)                                       // 000000004664: BF8CC27F
	v_mfma_f32_16x16x32_fp8_fp8 v[116:119], a[92:93], v[40:41], v[116:119]// 000000004668: D3F30074 0DD2515C
	v_mfma_f32_16x16x32_fp8_fp8 v[120:123], a[108:109], v[40:41], v[120:123]// 000000004670: D3F30078 0DE2516C
	v_mfma_f32_16x16x32_fp8_fp8 v[116:119], a[94:95], v[42:43], v[116:119]// 000000004678: D3F30074 0DD2555E
	v_mfma_f32_16x16x32_fp8_fp8 v[120:123], a[110:111], v[42:43], v[120:123]// 000000004680: D3F30078 0DE2556E
	s_waitcnt lgkmcnt(1)                                       // 000000004688: BF8CC17F
	v_mfma_f32_16x16x32_fp8_fp8 v[116:119], a[96:97], v[44:45], v[116:119]// 00000000468C: D3F30074 0DD25960
	v_mfma_f32_16x16x32_fp8_fp8 v[120:123], a[112:113], v[44:45], v[120:123]// 000000004694: D3F30078 0DE25970
	v_mfma_f32_16x16x32_fp8_fp8 v[116:119], a[98:99], v[46:47], v[116:119]// 00000000469C: D3F30074 0DD25D62
	v_mfma_f32_16x16x32_fp8_fp8 v[120:123], a[114:115], v[46:47], v[120:123]// 0000000046A4: D3F30078 0DE25D72
	s_waitcnt lgkmcnt(0)                                       // 0000000046AC: BF8CC07F
	v_mfma_f32_16x16x32_fp8_fp8 v[116:119], a[100:101], v[48:49], v[116:119]// 0000000046B0: D3F30074 0DD26164
	v_mfma_f32_16x16x32_fp8_fp8 v[120:123], a[116:117], v[48:49], v[120:123]// 0000000046B8: D3F30078 0DE26174
	v_mfma_f32_16x16x32_fp8_fp8 v[116:119], a[102:103], v[50:51], v[116:119]// 0000000046C0: D3F30074 0DD26566
	v_mfma_f32_16x16x32_fp8_fp8 v[120:123], a[118:119], v[50:51], v[120:123]// 0000000046C8: D3F30078 0DE26576
	s_addk_i32 s64, 0x100                                      // 0000000046D0: B7400100
	s_branch label_0836                                        // 0000000046D4: BF820000

00000000000046d8 <label_0836>:
	s_cmp_lt_i32 s64, s63                                      // 0000000046D8: BF043F40
	s_cbranch_scc0 label_1BFD                                  // 0000000046DC: BF8413C5
	s_waitcnt vmcnt(10)                                        // 0000000046E0: BF8C0F7A
	s_lshl_b32 s68, s76, 2                                     // 0000000046E4: 8E44824C
	s_cmp_lt_u32 s76, s77                                      // 0000000046E8: BF0A4D4C
	s_cselect_b32 s68, s68, 0                                  // 0000000046EC: 85448044
	s_addk_i32 s76, 0x1                                        // 0000000046F0: B74C0001
	s_load_dword s59, s[42:43], s68                            // 0000000046F4: C0000ED5 00000044
	s_waitcnt lgkmcnt(0)                                       // 0000000046FC: BF8CC07F
	s_mul_i32 s69, s59, s50                                    // 000000004700: 9245323B
	s_mul_i32 s71, s59, s66                                    // 000000004704: 9247423B
	s_mul_i32 s54, s78, s51                                    // 000000004708: 9236334E
	s_add_u32 s69, s69, s54                                    // 00000000470C: 80453645
	s_mov_b32 s70, s69                                         // 000000004710: BEC60045
	s_mul_i32 s54, s78, 4                                      // 000000004714: 9236844E
	s_add_u32 s71, s71, s54                                    // 000000004718: 80473647
	s_add_u32 s12, s86, s69                                    // 00000000471C: 800C4556
	s_addc_u32 s13, s87, 0                                     // 000000004720: 820D8057
	s_add_u32 s16, s88, s70                                    // 000000004724: 80104658
	s_addc_u32 s17, s89, 0                                     // 000000004728: 82118059
	s_add_u32 s20, s90, s71                                    // 00000000472C: 8014475A
	s_addc_u32 s21, s91, 0                                     // 000000004730: 8215805B
	s_add_u32 s24, s92, s71                                    // 000000004734: 8018475C
	s_addc_u32 s25, s93, 0                                     // 000000004738: 8219805D
	v_mfma_f32_16x16x32_fp8_fp8 v[4:7], a[56:57], a[0:1], 0    // 00000000473C: D3F30004 1A020138
	v_mfma_f32_16x16x32_fp8_fp8 v[4:7], a[58:59], a[2:3], v[4:7]// 000000004744: D3F30004 1C12053A
	v_mfma_f32_16x16x32_fp8_fp8 v[4:7], a[60:61], a[4:5], v[4:7]// 00000000474C: D3F30004 1C12093C
	buffer_load_dwordx4 a[24:27], v229, s[12:15], 0 offen      // 000000004754: E05C1000 808318E5
	v_mfma_f32_16x16x32_fp8_fp8 v[4:7], a[62:63], a[6:7], v[4:7]// 00000000475C: D3F30004 1C120D3E
	v_mfma_f32_16x16x32_fp8_fp8 v[8:11], a[64:65], a[0:1], 0   // 000000004764: D3F30008 1A020140
	v_mfma_f32_16x16x32_fp8_fp8 v[8:11], a[66:67], a[2:3], v[8:11]// 00000000476C: D3F30008 1C220542
	v_mfma_f32_16x16x32_fp8_fp8 v[8:11], a[68:69], a[4:5], v[8:11]// 000000004774: D3F30008 1C220944
	buffer_load_dwordx4 a[28:31], v230, s[12:15], 0 offen      // 00000000477C: E05C1000 80831CE6
	v_mfma_f32_16x16x32_fp8_fp8 v[8:11], a[70:71], a[6:7], v[8:11]// 000000004784: D3F30008 1C220D46
	v_mfma_f32_16x16x32_fp8_fp8 v[12:15], a[72:73], a[0:1], 0  // 00000000478C: D3F3000C 1A020148
	v_mfma_f32_16x16x32_fp8_fp8 v[12:15], a[74:75], a[2:3], v[12:15]// 000000004794: D3F3000C 1C32054A
	v_mfma_f32_16x16x32_fp8_fp8 v[12:15], a[76:77], a[4:5], v[12:15]// 00000000479C: D3F3000C 1C32094C
	buffer_load_dwordx4 a[32:35], v229, s[12:15], 0 offen offset:1024// 0000000047A4: E05C1400 808320E5
	v_mfma_f32_16x16x32_fp8_fp8 v[12:15], a[78:79], a[6:7], v[12:15]// 0000000047AC: D3F3000C 1C320D4E
	v_mfma_f32_16x16x32_fp8_fp8 v[16:19], a[80:81], a[0:1], 0  // 0000000047B4: D3F30010 1A020150
	v_mfma_f32_16x16x32_fp8_fp8 v[16:19], a[82:83], a[2:3], v[16:19]// 0000000047BC: D3F30010 1C420552
	v_mfma_f32_16x16x32_fp8_fp8 v[16:19], a[84:85], a[4:5], v[16:19]// 0000000047C4: D3F30010 1C420954
	buffer_load_dwordx4 a[36:39], v230, s[12:15], 0 offen offset:1024// 0000000047CC: E05C1400 808324E6
	v_mfma_f32_16x16x32_fp8_fp8 v[16:19], a[86:87], a[6:7], v[16:19]// 0000000047D4: D3F30010 1C420D56
	v_mfma_f32_16x16x32_fp8_fp8 v[20:23], a[56:57], a[8:9], 0  // 0000000047DC: D3F30014 1A021138
	v_mfma_f32_16x16x32_fp8_fp8 v[20:23], a[58:59], a[10:11], v[20:23]// 0000000047E4: D3F30014 1C52153A
	v_mfma_f32_16x16x32_fp8_fp8 v[20:23], a[60:61], a[12:13], v[20:23]// 0000000047EC: D3F30014 1C52193C
	buffer_load_dwordx4 a[40:43], v229, s[12:15], 0 offen offset:2048// 0000000047F4: E05C1800 808328E5
	v_mfma_f32_16x16x32_fp8_fp8 v[20:23], a[62:63], a[14:15], v[20:23]// 0000000047FC: D3F30014 1C521D3E
	v_mfma_f32_16x16x32_fp8_fp8 v[24:27], a[64:65], a[8:9], 0  // 000000004804: D3F30018 1A021140
	v_mfma_f32_16x16x32_fp8_fp8 v[24:27], a[66:67], a[10:11], v[24:27]// 00000000480C: D3F30018 1C621542
	v_mfma_f32_16x16x32_fp8_fp8 v[24:27], a[68:69], a[12:13], v[24:27]// 000000004814: D3F30018 1C621944
	buffer_load_dwordx4 a[44:47], v230, s[12:15], 0 offen offset:2048// 00000000481C: E05C1800 80832CE6
	v_mfma_f32_16x16x32_fp8_fp8 v[24:27], a[70:71], a[14:15], v[24:27]// 000000004824: D3F30018 1C621D46
	v_mfma_f32_16x16x32_fp8_fp8 v[28:31], a[72:73], a[8:9], 0  // 00000000482C: D3F3001C 1A021148
	v_mfma_f32_16x16x32_fp8_fp8 v[28:31], a[74:75], a[10:11], v[28:31]// 000000004834: D3F3001C 1C72154A
	v_mfma_f32_16x16x32_fp8_fp8 v[28:31], a[76:77], a[12:13], v[28:31]// 00000000483C: D3F3001C 1C72194C
	buffer_load_dwordx4 a[48:51], v229, s[12:15], 0 offen offset:3072// 000000004844: E05C1C00 808330E5
	v_mfma_f32_16x16x32_fp8_fp8 v[28:31], a[78:79], a[14:15], v[28:31]// 00000000484C: D3F3001C 1C721D4E
	v_mfma_f32_16x16x32_fp8_fp8 v[32:35], a[80:81], a[8:9], 0  // 000000004854: D3F30020 1A021150
	v_mfma_f32_16x16x32_fp8_fp8 v[32:35], a[82:83], a[10:11], v[32:35]// 00000000485C: D3F30020 1C821552
	v_mfma_f32_16x16x32_fp8_fp8 v[32:35], a[84:85], a[12:13], v[32:35]// 000000004864: D3F30020 1C821954
	buffer_load_dwordx4 a[52:55], v230, s[12:15], 0 offen offset:3072// 00000000486C: E05C1C00 808334E6
	v_mfma_f32_16x16x32_fp8_fp8 v[32:35], a[86:87], a[14:15], v[32:35]// 000000004874: D3F30020 1C821D56
	v_mfma_f32_16x16x32_fp8_fp8 v[36:39], a[56:57], a[16:17], 0// 00000000487C: D3F30024 1A022138
	v_mfma_f32_16x16x32_fp8_fp8 v[36:39], a[58:59], a[18:19], v[36:39]// 000000004884: D3F30024 1C92253A
	v_mfma_f32_16x16x32_fp8_fp8 v[36:39], a[60:61], a[20:21], v[36:39]// 00000000488C: D3F30024 1C92293C
	v_mfma_f32_16x16x32_fp8_fp8 v[36:39], a[62:63], a[22:23], v[36:39]// 000000004894: D3F30024 1C922D3E
	v_mfma_f32_16x16x32_fp8_fp8 v[40:43], a[64:65], a[16:17], 0// 00000000489C: D3F30028 1A022140
	v_mfma_f32_16x16x32_fp8_fp8 v[40:43], a[66:67], a[18:19], v[40:43]// 0000000048A4: D3F30028 1CA22542
	v_mfma_f32_16x16x32_fp8_fp8 v[40:43], a[68:69], a[20:21], v[40:43]// 0000000048AC: D3F30028 1CA22944
	v_mfma_f32_16x16x32_fp8_fp8 v[40:43], a[70:71], a[22:23], v[40:43]// 0000000048B4: D3F30028 1CA22D46
	v_mfma_f32_16x16x32_fp8_fp8 v[44:47], a[72:73], a[16:17], 0// 0000000048BC: D3F3002C 1A022148
	v_mfma_f32_16x16x32_fp8_fp8 v[44:47], a[74:75], a[18:19], v[44:47]// 0000000048C4: D3F3002C 1CB2254A
	v_mfma_f32_16x16x32_fp8_fp8 v[44:47], a[76:77], a[20:21], v[44:47]// 0000000048CC: D3F3002C 1CB2294C
	v_mfma_f32_16x16x32_fp8_fp8 v[44:47], a[78:79], a[22:23], v[44:47]// 0000000048D4: D3F3002C 1CB22D4E
	v_mfma_f32_16x16x32_fp8_fp8 v[48:51], a[80:81], a[16:17], 0// 0000000048DC: D3F30030 1A022150
	v_mfma_f32_16x16x32_fp8_fp8 v[48:51], a[82:83], a[18:19], v[48:51]// 0000000048E4: D3F30030 1CC22552
	v_mfma_f32_16x16x32_fp8_fp8 v[48:51], a[84:85], a[20:21], v[48:51]// 0000000048EC: D3F30030 1CC22954
	v_mfma_f32_16x16x32_fp8_fp8 v[48:51], a[86:87], a[22:23], v[48:51]// 0000000048F4: D3F30030 1CC22D56
	s_waitcnt vmcnt(16)                                        // 0000000048FC: BF8C4F70
	v_pk_mul_f32 v[4:5], v[148:149], v[4:5]                    // 000000004900: D3B14004 18020994
	v_pk_mul_f32 v[6:7], v[148:149], v[6:7]                    // 000000004908: D3B14006 18020D94
	v_mul_f32_dpp v4, v155, v4 row_newbcast:0 row_mask:0xf bank_mask:0xf// 000000004910: 0A0808FA FF01509B
	v_mul_f32_dpp v5, v155, v5 row_newbcast:1 row_mask:0xf bank_mask:0xf// 000000004918: 0A0A0AFA FF01519B
	v_mul_f32_dpp v6, v155, v6 row_newbcast:2 row_mask:0xf bank_mask:0xf// 000000004920: 0A0C0CFA FF01529B
	v_mul_f32_dpp v7, v155, v7 row_newbcast:3 row_mask:0xf bank_mask:0xf// 000000004928: 0A0E0EFA FF01539B
	v_pk_mul_f32 v[8:9], v[148:149], v[8:9]                    // 000000004930: D3B14008 18021194
	v_pk_mul_f32 v[10:11], v[148:149], v[10:11]                // 000000004938: D3B1400A 18021594
	v_mul_f32_dpp v8, v155, v8 row_newbcast:4 row_mask:0xf bank_mask:0xf// 000000004940: 0A1010FA FF01549B
	v_mul_f32_dpp v9, v155, v9 row_newbcast:5 row_mask:0xf bank_mask:0xf// 000000004948: 0A1212FA FF01559B
	v_mul_f32_dpp v10, v155, v10 row_newbcast:6 row_mask:0xf bank_mask:0xf// 000000004950: 0A1414FA FF01569B
	v_mul_f32_dpp v11, v155, v11 row_newbcast:7 row_mask:0xf bank_mask:0xf// 000000004958: 0A1616FA FF01579B
	v_pk_mul_f32 v[12:13], v[148:149], v[12:13]                // 000000004960: D3B1400C 18021994
	v_pk_mul_f32 v[14:15], v[148:149], v[14:15]                // 000000004968: D3B1400E 18021D94
	v_mul_f32_dpp v12, v155, v12 row_newbcast:8 row_mask:0xf bank_mask:0xf// 000000004970: 0A1818FA FF01589B
	v_mul_f32_dpp v13, v155, v13 row_newbcast:9 row_mask:0xf bank_mask:0xf// 000000004978: 0A1A1AFA FF01599B
	v_mul_f32_dpp v14, v155, v14 row_newbcast:10 row_mask:0xf bank_mask:0xf// 000000004980: 0A1C1CFA FF015A9B
	v_mul_f32_dpp v15, v155, v15 row_newbcast:11 row_mask:0xf bank_mask:0xf// 000000004988: 0A1E1EFA FF015B9B
	v_pk_mul_f32 v[16:17], v[148:149], v[16:17]                // 000000004990: D3B14010 18022194
	v_pk_mul_f32 v[18:19], v[148:149], v[18:19]                // 000000004998: D3B14012 18022594
	v_mul_f32_dpp v16, v155, v16 row_newbcast:12 row_mask:0xf bank_mask:0xf// 0000000049A0: 0A2020FA FF015C9B
	v_mul_f32_dpp v17, v155, v17 row_newbcast:13 row_mask:0xf bank_mask:0xf// 0000000049A8: 0A2222FA FF015D9B
	v_mul_f32_dpp v18, v155, v18 row_newbcast:14 row_mask:0xf bank_mask:0xf// 0000000049B0: 0A2424FA FF015E9B
	v_mul_f32_dpp v19, v155, v19 row_newbcast:15 row_mask:0xf bank_mask:0xf// 0000000049B8: 0A2626FA FF015F9B
	v_pk_mul_f32 v[20:21], v[150:151], v[20:21]                // 0000000049C0: D3B14014 18022996
	v_pk_mul_f32 v[22:23], v[150:151], v[22:23]                // 0000000049C8: D3B14016 18022D96
	v_mul_f32_dpp v20, v155, v20 row_newbcast:0 row_mask:0xf bank_mask:0xf// 0000000049D0: 0A2828FA FF01509B
	v_mul_f32_dpp v21, v155, v21 row_newbcast:1 row_mask:0xf bank_mask:0xf// 0000000049D8: 0A2A2AFA FF01519B
	v_mul_f32_dpp v22, v155, v22 row_newbcast:2 row_mask:0xf bank_mask:0xf// 0000000049E0: 0A2C2CFA FF01529B
	v_mul_f32_dpp v23, v155, v23 row_newbcast:3 row_mask:0xf bank_mask:0xf// 0000000049E8: 0A2E2EFA FF01539B
	v_pk_mul_f32 v[24:25], v[150:151], v[24:25]                // 0000000049F0: D3B14018 18023196
	v_pk_mul_f32 v[26:27], v[150:151], v[26:27]                // 0000000049F8: D3B1401A 18023596
	v_mul_f32_dpp v24, v155, v24 row_newbcast:4 row_mask:0xf bank_mask:0xf// 000000004A00: 0A3030FA FF01549B
	v_mul_f32_dpp v25, v155, v25 row_newbcast:5 row_mask:0xf bank_mask:0xf// 000000004A08: 0A3232FA FF01559B
	v_mul_f32_dpp v26, v155, v26 row_newbcast:6 row_mask:0xf bank_mask:0xf// 000000004A10: 0A3434FA FF01569B
	v_mul_f32_dpp v27, v155, v27 row_newbcast:7 row_mask:0xf bank_mask:0xf// 000000004A18: 0A3636FA FF01579B
	v_pk_mul_f32 v[28:29], v[150:151], v[28:29]                // 000000004A20: D3B1401C 18023996
	v_pk_mul_f32 v[30:31], v[150:151], v[30:31]                // 000000004A28: D3B1401E 18023D96
	v_mul_f32_dpp v28, v155, v28 row_newbcast:8 row_mask:0xf bank_mask:0xf// 000000004A30: 0A3838FA FF01589B
	v_mul_f32_dpp v29, v155, v29 row_newbcast:9 row_mask:0xf bank_mask:0xf// 000000004A38: 0A3A3AFA FF01599B
	v_mul_f32_dpp v30, v155, v30 row_newbcast:10 row_mask:0xf bank_mask:0xf// 000000004A40: 0A3C3CFA FF015A9B
	v_mul_f32_dpp v31, v155, v31 row_newbcast:11 row_mask:0xf bank_mask:0xf// 000000004A48: 0A3E3EFA FF015B9B
	v_pk_mul_f32 v[32:33], v[150:151], v[32:33]                // 000000004A50: D3B14020 18024196
	v_pk_mul_f32 v[34:35], v[150:151], v[34:35]                // 000000004A58: D3B14022 18024596
	v_mul_f32_dpp v32, v155, v32 row_newbcast:12 row_mask:0xf bank_mask:0xf// 000000004A60: 0A4040FA FF015C9B
	v_mul_f32_dpp v33, v155, v33 row_newbcast:13 row_mask:0xf bank_mask:0xf// 000000004A68: 0A4242FA FF015D9B
	v_mul_f32_dpp v34, v155, v34 row_newbcast:14 row_mask:0xf bank_mask:0xf// 000000004A70: 0A4444FA FF015E9B
	v_mul_f32_dpp v35, v155, v35 row_newbcast:15 row_mask:0xf bank_mask:0xf// 000000004A78: 0A4646FA FF015F9B
	v_pk_mul_f32 v[36:37], v[152:153], v[36:37]                // 000000004A80: D3B14024 18024998
	v_pk_mul_f32 v[38:39], v[152:153], v[38:39]                // 000000004A88: D3B14026 18024D98
	v_mul_f32_dpp v36, v155, v36 row_newbcast:0 row_mask:0xf bank_mask:0xf// 000000004A90: 0A4848FA FF01509B
	v_mul_f32_dpp v37, v155, v37 row_newbcast:1 row_mask:0xf bank_mask:0xf// 000000004A98: 0A4A4AFA FF01519B
	v_mul_f32_dpp v38, v155, v38 row_newbcast:2 row_mask:0xf bank_mask:0xf// 000000004AA0: 0A4C4CFA FF01529B
	v_mul_f32_dpp v39, v155, v39 row_newbcast:3 row_mask:0xf bank_mask:0xf// 000000004AA8: 0A4E4EFA FF01539B
	v_pk_mul_f32 v[40:41], v[152:153], v[40:41]                // 000000004AB0: D3B14028 18025198
	v_pk_mul_f32 v[42:43], v[152:153], v[42:43]                // 000000004AB8: D3B1402A 18025598
	v_mul_f32_dpp v40, v155, v40 row_newbcast:4 row_mask:0xf bank_mask:0xf// 000000004AC0: 0A5050FA FF01549B
	v_mul_f32_dpp v41, v155, v41 row_newbcast:5 row_mask:0xf bank_mask:0xf// 000000004AC8: 0A5252FA FF01559B
	v_mul_f32_dpp v42, v155, v42 row_newbcast:6 row_mask:0xf bank_mask:0xf// 000000004AD0: 0A5454FA FF01569B
	v_mul_f32_dpp v43, v155, v43 row_newbcast:7 row_mask:0xf bank_mask:0xf// 000000004AD8: 0A5656FA FF01579B
	v_pk_mul_f32 v[44:45], v[152:153], v[44:45]                // 000000004AE0: D3B1402C 18025998
	v_pk_mul_f32 v[46:47], v[152:153], v[46:47]                // 000000004AE8: D3B1402E 18025D98
	v_mul_f32_dpp v44, v155, v44 row_newbcast:8 row_mask:0xf bank_mask:0xf// 000000004AF0: 0A5858FA FF01589B
	v_mul_f32_dpp v45, v155, v45 row_newbcast:9 row_mask:0xf bank_mask:0xf// 000000004AF8: 0A5A5AFA FF01599B
	v_mul_f32_dpp v46, v155, v46 row_newbcast:10 row_mask:0xf bank_mask:0xf// 000000004B00: 0A5C5CFA FF015A9B
	v_mul_f32_dpp v47, v155, v47 row_newbcast:11 row_mask:0xf bank_mask:0xf// 000000004B08: 0A5E5EFA FF015B9B
	v_pk_mul_f32 v[48:49], v[152:153], v[48:49]                // 000000004B10: D3B14030 18026198
	v_pk_mul_f32 v[50:51], v[152:153], v[50:51]                // 000000004B18: D3B14032 18026598
	v_mul_f32_dpp v48, v155, v48 row_newbcast:12 row_mask:0xf bank_mask:0xf// 000000004B20: 0A6060FA FF015C9B
	v_mul_f32_dpp v49, v155, v49 row_newbcast:13 row_mask:0xf bank_mask:0xf// 000000004B28: 0A6262FA FF015D9B
	v_mul_f32_dpp v50, v155, v50 row_newbcast:14 row_mask:0xf bank_mask:0xf// 000000004B30: 0A6464FA FF015E9B
	v_mul_f32_dpp v51, v155, v51 row_newbcast:15 row_mask:0xf bank_mask:0xf// 000000004B38: 0A6666FA FF015F9B
	v_mov_b32_e32 v182, v4                                     // 000000004B40: 7F6C0304
	v_max3_f32 v182, v4, v5, v182                              // 000000004B44: D1D300B6 06DA0B04
	v_max3_f32 v182, v6, v7, v182                              // 000000004B4C: D1D300B6 06DA0F06
	v_max3_f32 v182, v8, v9, v182                              // 000000004B54: D1D300B6 06DA1308
	v_max3_f32 v182, v10, v11, v182                            // 000000004B5C: D1D300B6 06DA170A
	v_max3_f32 v182, v12, v13, v182                            // 000000004B64: D1D300B6 06DA1B0C
	v_max3_f32 v182, v14, v15, v182                            // 000000004B6C: D1D300B6 06DA1F0E
	v_max3_f32 v182, v16, v17, v182                            // 000000004B74: D1D300B6 06DA2310
	v_max3_f32 v182, v18, v19, v182                            // 000000004B7C: D1D300B6 06DA2712
	v_mov_b32_e32 v183, v20                                    // 000000004B84: 7F6E0314
	v_max3_f32 v183, v20, v21, v183                            // 000000004B88: D1D300B7 06DE2B14
	v_max3_f32 v183, v22, v23, v183                            // 000000004B90: D1D300B7 06DE2F16
	v_max3_f32 v183, v24, v25, v183                            // 000000004B98: D1D300B7 06DE3318
	v_max3_f32 v183, v26, v27, v183                            // 000000004BA0: D1D300B7 06DE371A
	v_max3_f32 v183, v28, v29, v183                            // 000000004BA8: D1D300B7 06DE3B1C
	v_max3_f32 v183, v30, v31, v183                            // 000000004BB0: D1D300B7 06DE3F1E
	v_max3_f32 v183, v32, v33, v183                            // 000000004BB8: D1D300B7 06DE4320
	v_max3_f32 v183, v34, v35, v183                            // 000000004BC0: D1D300B7 06DE4722
	v_mov_b32_e32 v184, v36                                    // 000000004BC8: 7F700324
	v_max3_f32 v184, v36, v37, v184                            // 000000004BCC: D1D300B8 06E24B24
	v_max3_f32 v184, v38, v39, v184                            // 000000004BD4: D1D300B8 06E24F26
	v_max3_f32 v184, v40, v41, v184                            // 000000004BDC: D1D300B8 06E25328
	v_max3_f32 v184, v42, v43, v184                            // 000000004BE4: D1D300B8 06E2572A
	v_max3_f32 v184, v44, v45, v184                            // 000000004BEC: D1D300B8 06E25B2C
	v_max3_f32 v184, v46, v47, v184                            // 000000004BF4: D1D300B8 06E25F2E
	v_max3_f32 v184, v48, v49, v184                            // 000000004BFC: D1D300B8 06E26330
	v_max3_f32 v184, v50, v51, v184                            // 000000004C04: D1D300B8 06E26732
	ds_bpermute_b32 v188, v208, v182                           // 000000004C0C: D87E0000 BC00B6D0
	ds_bpermute_b32 v189, v209, v182                           // 000000004C14: D87E0000 BD00B6D1
	ds_bpermute_b32 v190, v210, v182                           // 000000004C1C: D87E0000 BE00B6D2
	ds_bpermute_b32 v191, v208, v183                           // 000000004C24: D87E0000 BF00B7D0
	ds_bpermute_b32 v192, v209, v183                           // 000000004C2C: D87E0000 C000B7D1
	ds_bpermute_b32 v193, v210, v183                           // 000000004C34: D87E0000 C100B7D2
	ds_bpermute_b32 v194, v208, v184                           // 000000004C3C: D87E0000 C200B8D0
	ds_bpermute_b32 v195, v209, v184                           // 000000004C44: D87E0000 C300B8D1
	ds_bpermute_b32 v196, v210, v184                           // 000000004C4C: D87E0000 C400B8D2
	v_pk_mul_f32 v[124:125], v[170:171], v[124:125]            // 000000004C54: D3B1407C 1802F9AA
	v_pk_mul_f32 v[126:127], v[170:171], v[126:127]            // 000000004C5C: D3B1407E 1802FDAA
	v_pk_mul_f32 v[128:129], v[170:171], v[128:129]            // 000000004C64: D3B14080 180301AA
	v_pk_mul_f32 v[130:131], v[170:171], v[130:131]            // 000000004C6C: D3B14082 180305AA
	v_pk_mul_f32 v[132:133], v[172:173], v[132:133]            // 000000004C74: D3B14084 180309AC
	v_pk_mul_f32 v[134:135], v[172:173], v[134:135]            // 000000004C7C: D3B14086 18030DAC
	v_pk_mul_f32 v[136:137], v[172:173], v[136:137]            // 000000004C84: D3B14088 180311AC
	v_pk_mul_f32 v[138:139], v[172:173], v[138:139]            // 000000004C8C: D3B1408A 180315AC
	v_pk_mul_f32 v[140:141], v[174:175], v[140:141]            // 000000004C94: D3B1408C 180319AE
	v_pk_mul_f32 v[142:143], v[174:175], v[142:143]            // 000000004C9C: D3B1408E 18031DAE
	v_pk_mul_f32 v[144:145], v[174:175], v[144:145]            // 000000004CA4: D3B14090 180321AE
	v_pk_mul_f32 v[146:147], v[174:175], v[146:147]            // 000000004CAC: D3B14092 180325AE
	s_waitcnt lgkmcnt(6)                                       // 000000004CB4: BF8CC67F
	v_max3_f32 v182, v188, v189, v182                          // 000000004CB8: D1D300B6 06DB7BBC
	v_max_f32_e32 v182, v190, v182                             // 000000004CC0: 176D6DBE
	s_waitcnt lgkmcnt(3)                                       // 000000004CC4: BF8CC37F
	v_max3_f32 v183, v191, v192, v183                          // 000000004CC8: D1D300B7 06DF81BF
	v_max_f32_e32 v183, v193, v183                             // 000000004CD0: 176F6FC1
	s_waitcnt lgkmcnt(0)                                       // 000000004CD4: BF8CC07F
	v_max3_f32 v184, v194, v195, v184                          // 000000004CD8: D1D300B8 06E387C2
	v_max_f32_e32 v184, v196, v184                             // 000000004CE0: 177171C4
	ds_write_b128 v249, v[182:185]                             // 000000004CE4: D9BE0000 0000B6F9
	s_waitcnt lgkmcnt(0)                                       // 000000004CEC: BF8CC07F
	s_barrier                                                  // 000000004CF0: BF8A0000
	ds_read_b128 v[188:191], v250                              // 000000004CF4: D9FE0000 BC0000FA
	ds_read_b128 v[192:195], v250 offset:256                   // 000000004CFC: D9FE0100 C00000FA
	ds_read_b128 v[196:199], v250 offset:512                   // 000000004D04: D9FE0200 C40000FA
	ds_read_b128 v[200:203], v250 offset:768                   // 000000004D0C: D9FE0300 C80000FA
	v_pk_mul_f32 v[100:101], v[158:159], v[100:101]            // 000000004D14: D3B14064 1802C99E
	v_pk_mul_f32 v[102:103], v[158:159], v[102:103]            // 000000004D1C: D3B14066 1802CD9E
	v_pk_mul_f32 v[104:105], v[158:159], v[104:105]            // 000000004D24: D3B14068 1802D19E
	v_pk_mul_f32 v[106:107], v[158:159], v[106:107]            // 000000004D2C: D3B1406A 1802D59E
	v_pk_mul_f32 v[108:109], v[160:161], v[108:109]            // 000000004D34: D3B1406C 1802D9A0
	v_pk_mul_f32 v[110:111], v[160:161], v[110:111]            // 000000004D3C: D3B1406E 1802DDA0
	v_pk_mul_f32 v[112:113], v[160:161], v[112:113]            // 000000004D44: D3B14070 1802E1A0
	v_pk_mul_f32 v[114:115], v[160:161], v[114:115]            // 000000004D4C: D3B14072 1802E5A0
	v_pk_mul_f32 v[116:117], v[162:163], v[116:117]            // 000000004D54: D3B14074 1802E9A2
	v_pk_mul_f32 v[118:119], v[162:163], v[118:119]            // 000000004D5C: D3B14076 1802EDA2
	v_pk_mul_f32 v[120:121], v[162:163], v[120:121]            // 000000004D64: D3B14078 1802F1A2
	v_pk_mul_f32 v[122:123], v[162:163], v[122:123]            // 000000004D6C: D3B1407A 1802F5A2
	s_waitcnt lgkmcnt(0)                                       // 000000004D74: BF8CC07F
	v_max3_f32 v182, v188, v192, v182                          // 000000004D78: D1D300B6 06DB81BC
	v_max3_f32 v183, v189, v193, v183                          // 000000004D80: D1D300B7 06DF83BD
	v_max3_f32 v184, v190, v194, v184                          // 000000004D88: D1D300B8 06E385BE
	v_max3_f32 v182, v196, v200, v182                          // 000000004D90: D1D300B6 06DB91C4
	v_max3_f32 v183, v197, v201, v183                          // 000000004D98: D1D300B7 06DF93C5
	v_max3_f32 v184, v198, v202, v184                          // 000000004DA0: D1D300B8 06E395C6
	v_max_f32_e32 v167, v182, v164                             // 000000004DA8: 174F49B6
	v_mul_f32_e64 v204, -s46, v167                             // 000000004DAC: D10500CC 20034E2E
	v_mov_b32_e32 v205, v204                                   // 000000004DB4: 7F9A03CC
	v_pk_fma_f32 v[4:5], v[4:5], s[46:47], v[204:205]          // 000000004DB8: D3B04004 1F305D04
	v_pk_fma_f32 v[6:7], v[6:7], s[46:47], v[204:205]          // 000000004DC0: D3B04006 1F305D06
	v_exp_f32_e32 v4, v4                                       // 000000004DC8: 7E084104
	v_exp_f32_e32 v5, v5                                       // 000000004DCC: 7E0A4105
	v_exp_f32_e32 v6, v6                                       // 000000004DD0: 7E0C4106
	v_exp_f32_e32 v7, v7                                       // 000000004DD4: 7E0E4107
	v_pk_fma_f32 v[8:9], v[8:9], s[46:47], v[204:205]          // 000000004DD8: D3B04008 1F305D08
	v_pk_fma_f32 v[10:11], v[10:11], s[46:47], v[204:205]      // 000000004DE0: D3B0400A 1F305D0A
	v_exp_f32_e32 v8, v8                                       // 000000004DE8: 7E104108
	v_exp_f32_e32 v9, v9                                       // 000000004DEC: 7E124109
	v_exp_f32_e32 v10, v10                                     // 000000004DF0: 7E14410A
	v_exp_f32_e32 v11, v11                                     // 000000004DF4: 7E16410B
	v_pk_fma_f32 v[12:13], v[12:13], s[46:47], v[204:205]      // 000000004DF8: D3B0400C 1F305D0C
	v_pk_fma_f32 v[14:15], v[14:15], s[46:47], v[204:205]      // 000000004E00: D3B0400E 1F305D0E
	v_exp_f32_e32 v12, v12                                     // 000000004E08: 7E18410C
	v_exp_f32_e32 v13, v13                                     // 000000004E0C: 7E1A410D
	v_exp_f32_e32 v14, v14                                     // 000000004E10: 7E1C410E
	v_exp_f32_e32 v15, v15                                     // 000000004E14: 7E1E410F
	v_pk_fma_f32 v[16:17], v[16:17], s[46:47], v[204:205]      // 000000004E18: D3B04010 1F305D10
	v_pk_fma_f32 v[18:19], v[18:19], s[46:47], v[204:205]      // 000000004E20: D3B04012 1F305D12
	v_exp_f32_e32 v16, v16                                     // 000000004E28: 7E204110
	v_exp_f32_e32 v17, v17                                     // 000000004E2C: 7E224111
	v_exp_f32_e32 v18, v18                                     // 000000004E30: 7E244112
	v_exp_f32_e32 v19, v19                                     // 000000004E34: 7E264113
	v_max_f32_e32 v168, v183, v165                             // 000000004E38: 17514BB7
	v_mul_f32_e64 v204, -s46, v168                             // 000000004E3C: D10500CC 2003502E
	v_mov_b32_e32 v205, v204                                   // 000000004E44: 7F9A03CC
	v_pk_fma_f32 v[20:21], v[20:21], s[46:47], v[204:205]      // 000000004E48: D3B04014 1F305D14
	v_pk_fma_f32 v[22:23], v[22:23], s[46:47], v[204:205]      // 000000004E50: D3B04016 1F305D16
	v_exp_f32_e32 v20, v20                                     // 000000004E58: 7E284114
	v_exp_f32_e32 v21, v21                                     // 000000004E5C: 7E2A4115
	v_exp_f32_e32 v22, v22                                     // 000000004E60: 7E2C4116
	v_exp_f32_e32 v23, v23                                     // 000000004E64: 7E2E4117
	v_pk_fma_f32 v[24:25], v[24:25], s[46:47], v[204:205]      // 000000004E68: D3B04018 1F305D18
	v_pk_fma_f32 v[26:27], v[26:27], s[46:47], v[204:205]      // 000000004E70: D3B0401A 1F305D1A
	v_exp_f32_e32 v24, v24                                     // 000000004E78: 7E304118
	v_exp_f32_e32 v25, v25                                     // 000000004E7C: 7E324119
	v_exp_f32_e32 v26, v26                                     // 000000004E80: 7E34411A
	v_exp_f32_e32 v27, v27                                     // 000000004E84: 7E36411B
	v_pk_fma_f32 v[28:29], v[28:29], s[46:47], v[204:205]      // 000000004E88: D3B0401C 1F305D1C
	v_pk_fma_f32 v[30:31], v[30:31], s[46:47], v[204:205]      // 000000004E90: D3B0401E 1F305D1E
	v_exp_f32_e32 v28, v28                                     // 000000004E98: 7E38411C
	v_exp_f32_e32 v29, v29                                     // 000000004E9C: 7E3A411D
	v_exp_f32_e32 v30, v30                                     // 000000004EA0: 7E3C411E
	v_exp_f32_e32 v31, v31                                     // 000000004EA4: 7E3E411F
	v_pk_fma_f32 v[32:33], v[32:33], s[46:47], v[204:205]      // 000000004EA8: D3B04020 1F305D20
	v_pk_fma_f32 v[34:35], v[34:35], s[46:47], v[204:205]      // 000000004EB0: D3B04022 1F305D22
	v_exp_f32_e32 v32, v32                                     // 000000004EB8: 7E404120
	v_exp_f32_e32 v33, v33                                     // 000000004EBC: 7E424121
	v_exp_f32_e32 v34, v34                                     // 000000004EC0: 7E444122
	v_exp_f32_e32 v35, v35                                     // 000000004EC4: 7E464123
	v_max_f32_e32 v169, v184, v166                             // 000000004EC8: 17534DB8
	v_mul_f32_e64 v204, -s46, v169                             // 000000004ECC: D10500CC 2003522E
	v_mov_b32_e32 v205, v204                                   // 000000004ED4: 7F9A03CC
	v_pk_fma_f32 v[36:37], v[36:37], s[46:47], v[204:205]      // 000000004ED8: D3B04024 1F305D24
	v_pk_fma_f32 v[38:39], v[38:39], s[46:47], v[204:205]      // 000000004EE0: D3B04026 1F305D26
	v_exp_f32_e32 v36, v36                                     // 000000004EE8: 7E484124
	v_exp_f32_e32 v37, v37                                     // 000000004EEC: 7E4A4125
	v_exp_f32_e32 v38, v38                                     // 000000004EF0: 7E4C4126
	v_exp_f32_e32 v39, v39                                     // 000000004EF4: 7E4E4127
	v_pk_fma_f32 v[40:41], v[40:41], s[46:47], v[204:205]      // 000000004EF8: D3B04028 1F305D28
	v_pk_fma_f32 v[42:43], v[42:43], s[46:47], v[204:205]      // 000000004F00: D3B0402A 1F305D2A
	v_exp_f32_e32 v40, v40                                     // 000000004F08: 7E504128
	v_exp_f32_e32 v41, v41                                     // 000000004F0C: 7E524129
	v_exp_f32_e32 v42, v42                                     // 000000004F10: 7E54412A
	v_exp_f32_e32 v43, v43                                     // 000000004F14: 7E56412B
	v_pk_fma_f32 v[44:45], v[44:45], s[46:47], v[204:205]      // 000000004F18: D3B0402C 1F305D2C
	v_pk_fma_f32 v[46:47], v[46:47], s[46:47], v[204:205]      // 000000004F20: D3B0402E 1F305D2E
	v_exp_f32_e32 v44, v44                                     // 000000004F28: 7E58412C
	v_exp_f32_e32 v45, v45                                     // 000000004F2C: 7E5A412D
	v_exp_f32_e32 v46, v46                                     // 000000004F30: 7E5C412E
	v_exp_f32_e32 v47, v47                                     // 000000004F34: 7E5E412F
	v_pk_fma_f32 v[48:49], v[48:49], s[46:47], v[204:205]      // 000000004F38: D3B04030 1F305D30
	v_pk_fma_f32 v[50:51], v[50:51], s[46:47], v[204:205]      // 000000004F40: D3B04032 1F305D32
	v_exp_f32_e32 v48, v48                                     // 000000004F48: 7E604130
	v_exp_f32_e32 v49, v49                                     // 000000004F4C: 7E624131
	v_exp_f32_e32 v50, v50                                     // 000000004F50: 7E644132
	v_exp_f32_e32 v51, v51                                     // 000000004F54: 7E664133
	v_mul_f32_dpp v52, v157, v4 row_newbcast:0 row_mask:0xf bank_mask:0xf// 000000004F58: 0A6808FA FF01509D
	v_mul_f32_dpp v53, v157, v5 row_newbcast:1 row_mask:0xf bank_mask:0xf// 000000004F60: 0A6A0AFA FF01519D
	v_mul_f32_dpp v54, v157, v6 row_newbcast:2 row_mask:0xf bank_mask:0xf// 000000004F68: 0A6C0CFA FF01529D
	v_mul_f32_dpp v55, v157, v7 row_newbcast:3 row_mask:0xf bank_mask:0xf// 000000004F70: 0A6E0EFA FF01539D
	v_mul_f32_dpp v56, v157, v8 row_newbcast:4 row_mask:0xf bank_mask:0xf// 000000004F78: 0A7010FA FF01549D
	v_mul_f32_dpp v57, v157, v9 row_newbcast:5 row_mask:0xf bank_mask:0xf// 000000004F80: 0A7212FA FF01559D
	v_mul_f32_dpp v58, v157, v10 row_newbcast:6 row_mask:0xf bank_mask:0xf// 000000004F88: 0A7414FA FF01569D
	v_mul_f32_dpp v59, v157, v11 row_newbcast:7 row_mask:0xf bank_mask:0xf// 000000004F90: 0A7616FA FF01579D
	v_mul_f32_dpp v60, v157, v12 row_newbcast:8 row_mask:0xf bank_mask:0xf// 000000004F98: 0A7818FA FF01589D
	v_mul_f32_dpp v61, v157, v13 row_newbcast:9 row_mask:0xf bank_mask:0xf// 000000004FA0: 0A7A1AFA FF01599D
	v_mul_f32_dpp v62, v157, v14 row_newbcast:10 row_mask:0xf bank_mask:0xf// 000000004FA8: 0A7C1CFA FF015A9D
	v_mul_f32_dpp v63, v157, v15 row_newbcast:11 row_mask:0xf bank_mask:0xf// 000000004FB0: 0A7E1EFA FF015B9D
	v_mul_f32_dpp v64, v157, v16 row_newbcast:12 row_mask:0xf bank_mask:0xf// 000000004FB8: 0A8020FA FF015C9D
	v_mul_f32_dpp v65, v157, v17 row_newbcast:13 row_mask:0xf bank_mask:0xf// 000000004FC0: 0A8222FA FF015D9D
	v_mul_f32_dpp v66, v157, v18 row_newbcast:14 row_mask:0xf bank_mask:0xf// 000000004FC8: 0A8424FA FF015E9D
	v_mul_f32_dpp v67, v157, v19 row_newbcast:15 row_mask:0xf bank_mask:0xf// 000000004FD0: 0A8626FA FF015F9D
	v_mul_f32_dpp v68, v157, v20 row_newbcast:0 row_mask:0xf bank_mask:0xf// 000000004FD8: 0A8828FA FF01509D
	v_mul_f32_dpp v69, v157, v21 row_newbcast:1 row_mask:0xf bank_mask:0xf// 000000004FE0: 0A8A2AFA FF01519D
	v_mul_f32_dpp v70, v157, v22 row_newbcast:2 row_mask:0xf bank_mask:0xf// 000000004FE8: 0A8C2CFA FF01529D
	v_mul_f32_dpp v71, v157, v23 row_newbcast:3 row_mask:0xf bank_mask:0xf// 000000004FF0: 0A8E2EFA FF01539D
	v_mul_f32_dpp v72, v157, v24 row_newbcast:4 row_mask:0xf bank_mask:0xf// 000000004FF8: 0A9030FA FF01549D
	v_mul_f32_dpp v73, v157, v25 row_newbcast:5 row_mask:0xf bank_mask:0xf// 000000005000: 0A9232FA FF01559D
	v_mul_f32_dpp v74, v157, v26 row_newbcast:6 row_mask:0xf bank_mask:0xf// 000000005008: 0A9434FA FF01569D
	v_mul_f32_dpp v75, v157, v27 row_newbcast:7 row_mask:0xf bank_mask:0xf// 000000005010: 0A9636FA FF01579D
	v_mul_f32_dpp v76, v157, v28 row_newbcast:8 row_mask:0xf bank_mask:0xf// 000000005018: 0A9838FA FF01589D
	v_mul_f32_dpp v77, v157, v29 row_newbcast:9 row_mask:0xf bank_mask:0xf// 000000005020: 0A9A3AFA FF01599D
	v_mul_f32_dpp v78, v157, v30 row_newbcast:10 row_mask:0xf bank_mask:0xf// 000000005028: 0A9C3CFA FF015A9D
	v_mul_f32_dpp v79, v157, v31 row_newbcast:11 row_mask:0xf bank_mask:0xf// 000000005030: 0A9E3EFA FF015B9D
	v_mul_f32_dpp v80, v157, v32 row_newbcast:12 row_mask:0xf bank_mask:0xf// 000000005038: 0AA040FA FF015C9D
	v_mul_f32_dpp v81, v157, v33 row_newbcast:13 row_mask:0xf bank_mask:0xf// 000000005040: 0AA242FA FF015D9D
	v_mul_f32_dpp v82, v157, v34 row_newbcast:14 row_mask:0xf bank_mask:0xf// 000000005048: 0AA444FA FF015E9D
	v_mul_f32_dpp v83, v157, v35 row_newbcast:15 row_mask:0xf bank_mask:0xf// 000000005050: 0AA646FA FF015F9D
	v_mul_f32_dpp v84, v157, v36 row_newbcast:0 row_mask:0xf bank_mask:0xf// 000000005058: 0AA848FA FF01509D
	v_mul_f32_dpp v85, v157, v37 row_newbcast:1 row_mask:0xf bank_mask:0xf// 000000005060: 0AAA4AFA FF01519D
	v_mul_f32_dpp v86, v157, v38 row_newbcast:2 row_mask:0xf bank_mask:0xf// 000000005068: 0AAC4CFA FF01529D
	v_mul_f32_dpp v87, v157, v39 row_newbcast:3 row_mask:0xf bank_mask:0xf// 000000005070: 0AAE4EFA FF01539D
	v_mul_f32_dpp v88, v157, v40 row_newbcast:4 row_mask:0xf bank_mask:0xf// 000000005078: 0AB050FA FF01549D
	v_mul_f32_dpp v89, v157, v41 row_newbcast:5 row_mask:0xf bank_mask:0xf// 000000005080: 0AB252FA FF01559D
	v_mul_f32_dpp v90, v157, v42 row_newbcast:6 row_mask:0xf bank_mask:0xf// 000000005088: 0AB454FA FF01569D
	v_mul_f32_dpp v91, v157, v43 row_newbcast:7 row_mask:0xf bank_mask:0xf// 000000005090: 0AB656FA FF01579D
	v_mul_f32_dpp v92, v157, v44 row_newbcast:8 row_mask:0xf bank_mask:0xf// 000000005098: 0AB858FA FF01589D
	v_mul_f32_dpp v93, v157, v45 row_newbcast:9 row_mask:0xf bank_mask:0xf// 0000000050A0: 0ABA5AFA FF01599D
	v_mul_f32_dpp v94, v157, v46 row_newbcast:10 row_mask:0xf bank_mask:0xf// 0000000050A8: 0ABC5CFA FF015A9D
	v_mul_f32_dpp v95, v157, v47 row_newbcast:11 row_mask:0xf bank_mask:0xf// 0000000050B0: 0ABE5EFA FF015B9D
	v_mul_f32_dpp v96, v157, v48 row_newbcast:12 row_mask:0xf bank_mask:0xf// 0000000050B8: 0AC060FA FF015C9D
	v_mul_f32_dpp v97, v157, v49 row_newbcast:13 row_mask:0xf bank_mask:0xf// 0000000050C0: 0AC262FA FF015D9D
	v_mul_f32_dpp v98, v157, v50 row_newbcast:14 row_mask:0xf bank_mask:0xf// 0000000050C8: 0AC464FA FF015E9D
	v_mul_f32_dpp v99, v157, v51 row_newbcast:15 row_mask:0xf bank_mask:0xf// 0000000050D0: 0AC666FA FF015F9D
	buffer_load_dword v154, v235, s[20:23], 0 offen            // 0000000050D8: E0501000 80059AEB
	v_sub_f32_e32 v170, v164, v167                             // 0000000050E0: 05554FA4
	v_cmp_eq_u32_e64 s[98:99], v222, v164                      // 0000000050E4: D0CA0062 000349DE
	v_cndmask_b32_e64 v170, v170, 0, s[98:99]                  // 0000000050EC: D10000AA 018901AA
	v_mov_b32_e32 v164, v167                                   // 0000000050F4: 7F4803A7
	v_mul_f32_e32 v170, s46, v170                              // 0000000050F8: 0B55542E
	v_exp_f32_e32 v170, v170                                   // 0000000050FC: 7F5441AA
	v_sub_f32_e32 v172, v165, v168                             // 000000005100: 055951A5
	v_cmp_eq_u32_e64 s[98:99], v222, v165                      // 000000005104: D0CA0062 00034BDE
	v_cndmask_b32_e64 v172, v172, 0, s[98:99]                  // 00000000510C: D10000AC 018901AC
	v_mov_b32_e32 v165, v168                                   // 000000005114: 7F4A03A8
	v_mul_f32_e32 v172, s46, v172                              // 000000005118: 0B59582E
	v_exp_f32_e32 v172, v172                                   // 00000000511C: 7F5841AC
	v_sub_f32_e32 v174, v166, v169                             // 000000005120: 055D53A6
	v_cmp_eq_u32_e64 s[98:99], v222, v166                      // 000000005124: D0CA0062 00034DDE
	v_cndmask_b32_e64 v174, v174, 0, s[98:99]                  // 00000000512C: D10000AE 018901AE
	v_mov_b32_e32 v166, v169                                   // 000000005134: 7F4C03A9
	v_mul_f32_e32 v174, s46, v174                              // 000000005138: 0B5D5C2E
	v_exp_f32_e32 v174, v174                                   // 00000000513C: 7F5C41AE
	v_mov_b32_e32 v171, v170                                   // 000000005140: 7F5603AA
	v_mov_b32_e32 v173, v172                                   // 000000005144: 7F5A03AC
	v_mov_b32_e32 v175, v174                                   // 000000005148: 7F5E03AE
	s_waitcnt lgkmcnt(0)                                       // 00000000514C: BF8CC07F
	s_barrier                                                  // 000000005150: BF8A0000
	buffer_load_dword v156, v236, s[24:27], 0 offen            // 000000005154: E0501000 80069CEC
	v_mul_f32_e32 v176, v170, v176                             // 00000000515C: 0B6161AA
	v_mov_b32_e32 v177, 0                                      // 000000005160: 7F620280
	v_pk_add_f32 v[176:177], v[4:5], v[176:177]                // 000000005164: D3B240B0 18036104
	v_pk_add_f32 v[176:177], v[6:7], v[176:177]                // 00000000516C: D3B240B0 18036106
	v_pk_add_f32 v[176:177], v[8:9], v[176:177]                // 000000005174: D3B240B0 18036108
	v_pk_add_f32 v[176:177], v[10:11], v[176:177]              // 00000000517C: D3B240B0 1803610A
	v_pk_add_f32 v[176:177], v[12:13], v[176:177]              // 000000005184: D3B240B0 1803610C
	v_pk_add_f32 v[176:177], v[14:15], v[176:177]              // 00000000518C: D3B240B0 1803610E
	v_pk_add_f32 v[176:177], v[16:17], v[176:177]              // 000000005194: D3B240B0 18036110
	v_pk_add_f32 v[176:177], v[18:19], v[176:177]              // 00000000519C: D3B240B0 18036112
	v_add_f32_e32 v176, v177, v176                             // 0000000051A4: 036161B1
	v_mul_f32_e32 v178, v172, v178                             // 0000000051A8: 0B6565AC
	v_mov_b32_e32 v179, 0                                      // 0000000051AC: 7F660280
	v_pk_add_f32 v[178:179], v[20:21], v[178:179]              // 0000000051B0: D3B240B2 18036514
	v_pk_add_f32 v[178:179], v[22:23], v[178:179]              // 0000000051B8: D3B240B2 18036516
	v_pk_add_f32 v[178:179], v[24:25], v[178:179]              // 0000000051C0: D3B240B2 18036518
	v_pk_add_f32 v[178:179], v[26:27], v[178:179]              // 0000000051C8: D3B240B2 1803651A
	v_pk_add_f32 v[178:179], v[28:29], v[178:179]              // 0000000051D0: D3B240B2 1803651C
	v_pk_add_f32 v[178:179], v[30:31], v[178:179]              // 0000000051D8: D3B240B2 1803651E
	v_pk_add_f32 v[178:179], v[32:33], v[178:179]              // 0000000051E0: D3B240B2 18036520
	v_pk_add_f32 v[178:179], v[34:35], v[178:179]              // 0000000051E8: D3B240B2 18036522
	v_add_f32_e32 v178, v179, v178                             // 0000000051F0: 036565B3
	v_mul_f32_e32 v180, v174, v180                             // 0000000051F4: 0B6969AE
	v_mov_b32_e32 v181, 0                                      // 0000000051F8: 7F6A0280
	v_pk_add_f32 v[180:181], v[36:37], v[180:181]              // 0000000051FC: D3B240B4 18036924
	v_pk_add_f32 v[180:181], v[38:39], v[180:181]              // 000000005204: D3B240B4 18036926
	v_pk_add_f32 v[180:181], v[40:41], v[180:181]              // 00000000520C: D3B240B4 18036928
	v_pk_add_f32 v[180:181], v[42:43], v[180:181]              // 000000005214: D3B240B4 1803692A
	v_pk_add_f32 v[180:181], v[44:45], v[180:181]              // 00000000521C: D3B240B4 1803692C
	v_pk_add_f32 v[180:181], v[46:47], v[180:181]              // 000000005224: D3B240B4 1803692E
	v_pk_add_f32 v[180:181], v[48:49], v[180:181]              // 00000000522C: D3B240B4 18036930
	v_pk_add_f32 v[180:181], v[50:51], v[180:181]              // 000000005234: D3B240B4 18036932
	v_add_f32_e32 v180, v181, v180                             // 00000000523C: 036969B5
	s_waitcnt lgkmcnt(0)                                       // 000000005240: BF8CC07F
	v_sub_f32_e32 v182, v182, v164                             // 000000005244: 056D49B6
	v_sub_f32_e32 v183, v183, v165                             // 000000005248: 056F4BB7
	v_sub_f32_e32 v184, v184, v166                             // 00000000524C: 05714DB8
	v_mul_f32_e32 v182, s46, v182                              // 000000005250: 0B6D6C2E
	v_mul_f32_e32 v183, s46, v183                              // 000000005254: 0B6F6E2E
	v_mul_f32_e32 v184, s46, v184                              // 000000005258: 0B71702E
	v_exp_f32_e32 v182, v182                                   // 00000000525C: 7F6C41B6
	v_exp_f32_e32 v183, v183                                   // 000000005260: 7F6E41B7
	v_exp_f32_e32 v184, v184                                   // 000000005264: 7F7041B8
	v_mul_f32_e32 v182, v157, v182                             // 000000005268: 0B6D6D9D
	v_mul_f32_e32 v183, v157, v183                             // 00000000526C: 0B6F6F9D
	v_mul_f32_e32 v184, v157, v184                             // 000000005270: 0B71719D
	v_add_f32_e32 v182, 0x3089705f, v182                       // 000000005274: 036D6CFF 3089705F
	v_add_f32_e32 v183, 0x3089705f, v183                       // 00000000527C: 036F6EFF 3089705F
	v_add_f32_e32 v184, 0x3089705f, v184                       // 000000005284: 037170FF 3089705F
	v_rcp_f32_e32 v182, v182                                   // 00000000528C: 7F6C45B6
	v_rcp_f32_e32 v183, v183                                   // 000000005290: 7F6E45B7
	v_rcp_f32_e32 v184, v184                                   // 000000005294: 7F7045B8
	v_mul_f32_e32 v182, 0x43700000, v182                       // 000000005298: 0B6D6CFF 43700000
	v_mul_f32_e32 v183, 0x43700000, v183                       // 0000000052A0: 0B6F6EFF 43700000
	v_mul_f32_e32 v184, 0x43700000, v184                       // 0000000052A8: 0B7170FF 43700000
	v_mov_b32_e32 v186, v184                                   // 0000000052B0: 7F7403B8
	v_mov_b32_e32 v187, v184                                   // 0000000052B4: 7F7603B8
	v_mov_b32_e32 v184, v183                                   // 0000000052B8: 7F7003B7
	v_mov_b32_e32 v185, v183                                   // 0000000052BC: 7F7203B7
	v_mov_b32_e32 v183, v182                                   // 0000000052C0: 7F6E03B6
	v_pk_mul_f32 v[4:5], v[182:183], v[52:53]                  // 0000000052C4: D3B14004 180269B6
	v_pk_mul_f32 v[6:7], v[182:183], v[54:55]                  // 0000000052CC: D3B14006 18026DB6
	v_pk_mul_f32 v[8:9], v[182:183], v[56:57]                  // 0000000052D4: D3B14008 180271B6
	v_pk_mul_f32 v[10:11], v[182:183], v[58:59]                // 0000000052DC: D3B1400A 180275B6
	v_pk_mul_f32 v[12:13], v[182:183], v[60:61]                // 0000000052E4: D3B1400C 180279B6
	v_pk_mul_f32 v[14:15], v[182:183], v[62:63]                // 0000000052EC: D3B1400E 18027DB6
	v_pk_mul_f32 v[16:17], v[182:183], v[64:65]                // 0000000052F4: D3B14010 180281B6
	v_pk_mul_f32 v[18:19], v[182:183], v[66:67]                // 0000000052FC: D3B14012 180285B6
	v_pk_mul_f32 v[20:21], v[184:185], v[68:69]                // 000000005304: D3B14014 180289B8
	v_pk_mul_f32 v[22:23], v[184:185], v[70:71]                // 00000000530C: D3B14016 18028DB8
	v_pk_mul_f32 v[24:25], v[184:185], v[72:73]                // 000000005314: D3B14018 180291B8
	v_pk_mul_f32 v[26:27], v[184:185], v[74:75]                // 00000000531C: D3B1401A 180295B8
	v_pk_mul_f32 v[28:29], v[184:185], v[76:77]                // 000000005324: D3B1401C 180299B8
	v_pk_mul_f32 v[30:31], v[184:185], v[78:79]                // 00000000532C: D3B1401E 18029DB8
	v_pk_mul_f32 v[32:33], v[184:185], v[80:81]                // 000000005334: D3B14020 1802A1B8
	v_pk_mul_f32 v[34:35], v[184:185], v[82:83]                // 00000000533C: D3B14022 1802A5B8
	v_pk_mul_f32 v[36:37], v[186:187], v[84:85]                // 000000005344: D3B14024 1802A9BA
	v_pk_mul_f32 v[38:39], v[186:187], v[86:87]                // 00000000534C: D3B14026 1802ADBA
	v_pk_mul_f32 v[40:41], v[186:187], v[88:89]                // 000000005354: D3B14028 1802B1BA
	v_pk_mul_f32 v[42:43], v[186:187], v[90:91]                // 00000000535C: D3B1402A 1802B5BA
	v_pk_mul_f32 v[44:45], v[186:187], v[92:93]                // 000000005364: D3B1402C 1802B9BA
	v_pk_mul_f32 v[46:47], v[186:187], v[94:95]                // 00000000536C: D3B1402E 1802BDBA
	v_pk_mul_f32 v[48:49], v[186:187], v[96:97]                // 000000005374: D3B14030 1802C1BA
	v_pk_mul_f32 v[50:51], v[186:187], v[98:99]                // 00000000537C: D3B14032 1802C5BA
	v_cvt_pk_fp8_f32 v4, v4, v5                                // 000000005384: D2A20004 00020B04
	v_cvt_pk_fp8_f32 v4, v6, v7 op_sel:[0,0,1]                 // 00000000538C: D2A24004 00020F06
	v_cvt_pk_fp8_f32 v5, v8, v9                                // 000000005394: D2A20005 00021308
	v_cvt_pk_fp8_f32 v5, v10, v11 op_sel:[0,0,1]               // 00000000539C: D2A24005 0002170A
	v_cvt_pk_fp8_f32 v6, v12, v13                              // 0000000053A4: D2A20006 00021B0C
	v_cvt_pk_fp8_f32 v6, v14, v15 op_sel:[0,0,1]               // 0000000053AC: D2A24006 00021F0E
	v_cvt_pk_fp8_f32 v7, v16, v17                              // 0000000053B4: D2A20007 00022310
	v_cvt_pk_fp8_f32 v7, v18, v19 op_sel:[0,0,1]               // 0000000053BC: D2A24007 00022712
	v_cvt_pk_fp8_f32 v8, v20, v21                              // 0000000053C4: D2A20008 00022B14
	v_cvt_pk_fp8_f32 v8, v22, v23 op_sel:[0,0,1]               // 0000000053CC: D2A24008 00022F16
	v_cvt_pk_fp8_f32 v9, v24, v25                              // 0000000053D4: D2A20009 00023318
	v_cvt_pk_fp8_f32 v9, v26, v27 op_sel:[0,0,1]               // 0000000053DC: D2A24009 0002371A
	v_cvt_pk_fp8_f32 v10, v28, v29                             // 0000000053E4: D2A2000A 00023B1C
	v_cvt_pk_fp8_f32 v10, v30, v31 op_sel:[0,0,1]              // 0000000053EC: D2A2400A 00023F1E
	v_cvt_pk_fp8_f32 v11, v32, v33                             // 0000000053F4: D2A2000B 00024320
	v_cvt_pk_fp8_f32 v11, v34, v35 op_sel:[0,0,1]              // 0000000053FC: D2A2400B 00024722
	v_cvt_pk_fp8_f32 v12, v36, v37                             // 000000005404: D2A2000C 00024B24
	v_cvt_pk_fp8_f32 v12, v38, v39 op_sel:[0,0,1]              // 00000000540C: D2A2400C 00024F26
	v_cvt_pk_fp8_f32 v13, v40, v41                             // 000000005414: D2A2000D 00025328
	v_cvt_pk_fp8_f32 v13, v42, v43 op_sel:[0,0,1]              // 00000000541C: D2A2400D 0002572A
	v_cvt_pk_fp8_f32 v14, v44, v45                             // 000000005424: D2A2000E 00025B2C
	v_cvt_pk_fp8_f32 v14, v46, v47 op_sel:[0,0,1]              // 00000000542C: D2A2400E 00025F2E
	v_cvt_pk_fp8_f32 v15, v48, v49                             // 000000005434: D2A2000F 00026330
	v_cvt_pk_fp8_f32 v15, v50, v51 op_sel:[0,0,1]              // 00000000543C: D2A2400F 00026732
	ds_write_b32 v251, v4 offset:8192                          // 000000005444: D81A2000 000004FB
	ds_write_b32 v251, v5 offset:9216                          // 00000000544C: D81A2400 000005FB
	ds_write_b32 v251, v6 offset:10240                         // 000000005454: D81A2800 000006FB
	ds_write_b32 v251, v7 offset:11264                         // 00000000545C: D81A2C00 000007FB
	ds_write_b32 v251, v8 offset:12288                         // 000000005464: D81A3000 000008FB
	ds_write_b32 v251, v9 offset:13312                         // 00000000546C: D81A3400 000009FB
	ds_write_b32 v251, v10 offset:14336                        // 000000005474: D81A3800 00000AFB
	ds_write_b32 v251, v11 offset:15360                        // 00000000547C: D81A3C00 00000BFB
	ds_write_b32 v251, v12 offset:16384                        // 000000005484: D81A4000 00000CFB
	ds_write_b32 v251, v13 offset:17408                        // 00000000548C: D81A4400 00000DFB
	ds_write_b32 v251, v14 offset:18432                        // 000000005494: D81A4800 00000EFB
	ds_write_b32 v251, v15 offset:19456                        // 00000000549C: D81A4C00 00000FFB
	v_rcp_f32_e32 v158, v182                                   // 0000000054A4: 7F3C45B6
	v_rcp_f32_e32 v160, v184                                   // 0000000054A8: 7F4045B8
	v_rcp_f32_e32 v162, v186                                   // 0000000054AC: 7F4445BA
	v_mov_b32_e32 v159, v158                                   // 0000000054B0: 7F3E039E
	v_mov_b32_e32 v161, v160                                   // 0000000054B4: 7F4203A0
	v_mov_b32_e32 v163, v162                                   // 0000000054B8: 7F4603A2
	v_pk_add_f32 v[124:125], v[124:125], v[100:101]            // 0000000054BC: D3B2407C 1802C97C
	v_pk_add_f32 v[126:127], v[126:127], v[102:103]            // 0000000054C4: D3B2407E 1802CD7E
	v_pk_add_f32 v[128:129], v[128:129], v[104:105]            // 0000000054CC: D3B24080 1802D180
	v_pk_add_f32 v[130:131], v[130:131], v[106:107]            // 0000000054D4: D3B24082 1802D582
	v_pk_add_f32 v[132:133], v[132:133], v[108:109]            // 0000000054DC: D3B24084 1802D984
	v_pk_add_f32 v[134:135], v[134:135], v[110:111]            // 0000000054E4: D3B24086 1802DD86
	v_pk_add_f32 v[136:137], v[136:137], v[112:113]            // 0000000054EC: D3B24088 1802E188
	v_pk_add_f32 v[138:139], v[138:139], v[114:115]            // 0000000054F4: D3B2408A 1802E58A
	v_pk_add_f32 v[140:141], v[140:141], v[116:117]            // 0000000054FC: D3B2408C 1802E98C
	v_pk_add_f32 v[142:143], v[142:143], v[118:119]            // 000000005504: D3B2408E 1802ED8E
	v_pk_add_f32 v[144:145], v[144:145], v[120:121]            // 00000000550C: D3B24090 1802F190
	v_pk_add_f32 v[146:147], v[146:147], v[122:123]            // 000000005514: D3B24092 1802F592
	s_waitcnt lgkmcnt(0)                                       // 00000000551C: BF8CC07F
	s_barrier                                                  // 000000005520: BF8A0000
	ds_read_b128 v[4:7], v252 offset:8192                      // 000000005524: D9FE2000 040000FC
	ds_read_b128 v[8:11], v252 offset:9216                     // 00000000552C: D9FE2400 080000FC
	ds_read_b128 v[12:15], v252 offset:10240                   // 000000005534: D9FE2800 0C0000FC
	ds_read_b128 v[16:19], v252 offset:11264                   // 00000000553C: D9FE2C00 100000FC
	ds_read_b128 v[20:23], v252 offset:12288                   // 000000005544: D9FE3000 140000FC
	ds_read_b128 v[24:27], v252 offset:13312                   // 00000000554C: D9FE3400 180000FC
	ds_read_b128 v[28:31], v252 offset:14336                   // 000000005554: D9FE3800 1C0000FC
	ds_read_b128 v[32:35], v252 offset:15360                   // 00000000555C: D9FE3C00 200000FC
	ds_read_b128 v[36:39], v252 offset:16384                   // 000000005564: D9FE4000 240000FC
	ds_read_b128 v[40:43], v252 offset:17408                   // 00000000556C: D9FE4400 280000FC
	ds_read_b128 v[44:47], v252 offset:18432                   // 000000005574: D9FE4800 2C0000FC
	ds_read_b128 v[48:51], v252 offset:19456                   // 00000000557C: D9FE4C00 300000FC
	s_waitcnt vmcnt(10)                                        // 000000005584: BF8C0F7A
	s_waitcnt lgkmcnt(11)                                      // 000000005588: BF8CCB7F
	v_mfma_f32_16x16x32_fp8_fp8 v[100:103], a[120:121], v[4:5], 0// 00000000558C: D3F30064 0A020978
	v_mfma_f32_16x16x32_fp8_fp8 v[104:107], a[136:137], v[4:5], 0// 000000005594: D3F30068 0A020988
	v_mfma_f32_16x16x32_fp8_fp8 v[100:103], a[122:123], v[6:7], v[100:103]// 00000000559C: D3F30064 0D920D7A
	buffer_load_dwordx4 a[88:91], v231, s[16:19], 0 offen      // 0000000055A4: E05C1000 808458E7
	v_mfma_f32_16x16x32_fp8_fp8 v[104:107], a[138:139], v[6:7], v[104:107]// 0000000055AC: D3F30068 0DA20D8A
	s_waitcnt lgkmcnt(10)                                      // 0000000055B4: BF8CCA7F
	v_mfma_f32_16x16x32_fp8_fp8 v[100:103], a[124:125], v[8:9], v[100:103]// 0000000055B8: D3F30064 0D92117C
	v_mfma_f32_16x16x32_fp8_fp8 v[104:107], a[140:141], v[8:9], v[104:107]// 0000000055C0: D3F30068 0DA2118C
	v_mfma_f32_16x16x32_fp8_fp8 v[100:103], a[126:127], v[10:11], v[100:103]// 0000000055C8: D3F30064 0D92157E
	buffer_load_dwordx4 a[92:95], v232, s[16:19], 0 offen      // 0000000055D0: E05C1000 80845CE8
	v_mfma_f32_16x16x32_fp8_fp8 v[104:107], a[142:143], v[10:11], v[104:107]// 0000000055D8: D3F30068 0DA2158E
	s_waitcnt lgkmcnt(9)                                       // 0000000055E0: BF8CC97F
	v_mfma_f32_16x16x32_fp8_fp8 v[100:103], a[128:129], v[12:13], v[100:103]// 0000000055E4: D3F30064 0D921980
	v_mfma_f32_16x16x32_fp8_fp8 v[104:107], a[144:145], v[12:13], v[104:107]// 0000000055EC: D3F30068 0DA21990
	v_mfma_f32_16x16x32_fp8_fp8 v[100:103], a[130:131], v[14:15], v[100:103]// 0000000055F4: D3F30064 0D921D82
	buffer_load_dwordx4 a[96:99], v233, s[16:19], 0 offen      // 0000000055FC: E05C1000 808460E9
	v_mfma_f32_16x16x32_fp8_fp8 v[104:107], a[146:147], v[14:15], v[104:107]// 000000005604: D3F30068 0DA21D92
	s_waitcnt lgkmcnt(8)                                       // 00000000560C: BF8CC87F
	v_mfma_f32_16x16x32_fp8_fp8 v[100:103], a[132:133], v[16:17], v[100:103]// 000000005610: D3F30064 0D922184
	v_mfma_f32_16x16x32_fp8_fp8 v[104:107], a[148:149], v[16:17], v[104:107]// 000000005618: D3F30068 0DA22194
	v_mfma_f32_16x16x32_fp8_fp8 v[100:103], a[134:135], v[18:19], v[100:103]// 000000005620: D3F30064 0D922586
	buffer_load_dwordx4 a[100:103], v234, s[16:19], 0 offen    // 000000005628: E05C1000 808464EA
	v_mfma_f32_16x16x32_fp8_fp8 v[104:107], a[150:151], v[18:19], v[104:107]// 000000005630: D3F30068 0DA22596
	s_waitcnt lgkmcnt(7)                                       // 000000005638: BF8CC77F
	v_mfma_f32_16x16x32_fp8_fp8 v[108:111], a[120:121], v[20:21], 0// 00000000563C: D3F3006C 0A022978
	v_mfma_f32_16x16x32_fp8_fp8 v[112:115], a[136:137], v[20:21], 0// 000000005644: D3F30070 0A022988
	v_mfma_f32_16x16x32_fp8_fp8 v[108:111], a[122:123], v[22:23], v[108:111]// 00000000564C: D3F3006C 0DB22D7A
	buffer_load_dwordx4 a[104:107], v231, s[16:19], 0 offen offset:1024// 000000005654: E05C1400 808468E7
	v_mfma_f32_16x16x32_fp8_fp8 v[112:115], a[138:139], v[22:23], v[112:115]// 00000000565C: D3F30070 0DC22D8A
	s_waitcnt lgkmcnt(6)                                       // 000000005664: BF8CC67F
	v_mfma_f32_16x16x32_fp8_fp8 v[108:111], a[124:125], v[24:25], v[108:111]// 000000005668: D3F3006C 0DB2317C
	v_mfma_f32_16x16x32_fp8_fp8 v[112:115], a[140:141], v[24:25], v[112:115]// 000000005670: D3F30070 0DC2318C
	v_mfma_f32_16x16x32_fp8_fp8 v[108:111], a[126:127], v[26:27], v[108:111]// 000000005678: D3F3006C 0DB2357E
	buffer_load_dwordx4 a[108:111], v232, s[16:19], 0 offen offset:1024// 000000005680: E05C1400 80846CE8
	v_mfma_f32_16x16x32_fp8_fp8 v[112:115], a[142:143], v[26:27], v[112:115]// 000000005688: D3F30070 0DC2358E
	s_waitcnt lgkmcnt(5)                                       // 000000005690: BF8CC57F
	v_mfma_f32_16x16x32_fp8_fp8 v[108:111], a[128:129], v[28:29], v[108:111]// 000000005694: D3F3006C 0DB23980
	v_mfma_f32_16x16x32_fp8_fp8 v[112:115], a[144:145], v[28:29], v[112:115]// 00000000569C: D3F30070 0DC23990
	v_mfma_f32_16x16x32_fp8_fp8 v[108:111], a[130:131], v[30:31], v[108:111]// 0000000056A4: D3F3006C 0DB23D82
	buffer_load_dwordx4 a[112:115], v233, s[16:19], 0 offen offset:1024// 0000000056AC: E05C1400 808470E9
	v_mfma_f32_16x16x32_fp8_fp8 v[112:115], a[146:147], v[30:31], v[112:115]// 0000000056B4: D3F30070 0DC23D92
	s_waitcnt lgkmcnt(4)                                       // 0000000056BC: BF8CC47F
	v_mfma_f32_16x16x32_fp8_fp8 v[108:111], a[132:133], v[32:33], v[108:111]// 0000000056C0: D3F3006C 0DB24184
	v_mfma_f32_16x16x32_fp8_fp8 v[112:115], a[148:149], v[32:33], v[112:115]// 0000000056C8: D3F30070 0DC24194
	v_mfma_f32_16x16x32_fp8_fp8 v[108:111], a[134:135], v[34:35], v[108:111]// 0000000056D0: D3F3006C 0DB24586
	buffer_load_dwordx4 a[116:119], v234, s[16:19], 0 offen offset:1024// 0000000056D8: E05C1400 808474EA
	v_mfma_f32_16x16x32_fp8_fp8 v[112:115], a[150:151], v[34:35], v[112:115]// 0000000056E0: D3F30070 0DC24596
	s_waitcnt lgkmcnt(3)                                       // 0000000056E8: BF8CC37F
	v_mfma_f32_16x16x32_fp8_fp8 v[116:119], a[120:121], v[36:37], 0// 0000000056EC: D3F30074 0A024978
	v_mfma_f32_16x16x32_fp8_fp8 v[120:123], a[136:137], v[36:37], 0// 0000000056F4: D3F30078 0A024988
	v_mfma_f32_16x16x32_fp8_fp8 v[116:119], a[122:123], v[38:39], v[116:119]// 0000000056FC: D3F30074 0DD24D7A
	v_mfma_f32_16x16x32_fp8_fp8 v[120:123], a[138:139], v[38:39], v[120:123]// 000000005704: D3F30078 0DE24D8A
	s_waitcnt lgkmcnt(2)                                       // 00000000570C: BF8CC27F
	v_mfma_f32_16x16x32_fp8_fp8 v[116:119], a[124:125], v[40:41], v[116:119]// 000000005710: D3F30074 0DD2517C
	v_mfma_f32_16x16x32_fp8_fp8 v[120:123], a[140:141], v[40:41], v[120:123]// 000000005718: D3F30078 0DE2518C
	v_mfma_f32_16x16x32_fp8_fp8 v[116:119], a[126:127], v[42:43], v[116:119]// 000000005720: D3F30074 0DD2557E
	v_mfma_f32_16x16x32_fp8_fp8 v[120:123], a[142:143], v[42:43], v[120:123]// 000000005728: D3F30078 0DE2558E
	s_waitcnt lgkmcnt(1)                                       // 000000005730: BF8CC17F
	v_mfma_f32_16x16x32_fp8_fp8 v[116:119], a[128:129], v[44:45], v[116:119]// 000000005734: D3F30074 0DD25980
	v_mfma_f32_16x16x32_fp8_fp8 v[120:123], a[144:145], v[44:45], v[120:123]// 00000000573C: D3F30078 0DE25990
	v_mfma_f32_16x16x32_fp8_fp8 v[116:119], a[130:131], v[46:47], v[116:119]// 000000005744: D3F30074 0DD25D82
	v_mfma_f32_16x16x32_fp8_fp8 v[120:123], a[146:147], v[46:47], v[120:123]// 00000000574C: D3F30078 0DE25D92
	s_waitcnt lgkmcnt(0)                                       // 000000005754: BF8CC07F
	v_mfma_f32_16x16x32_fp8_fp8 v[116:119], a[132:133], v[48:49], v[116:119]// 000000005758: D3F30074 0DD26184
	v_mfma_f32_16x16x32_fp8_fp8 v[120:123], a[148:149], v[48:49], v[120:123]// 000000005760: D3F30078 0DE26194
	v_mfma_f32_16x16x32_fp8_fp8 v[116:119], a[134:135], v[50:51], v[116:119]// 000000005768: D3F30074 0DD26586
	v_mfma_f32_16x16x32_fp8_fp8 v[120:123], a[150:151], v[50:51], v[120:123]// 000000005770: D3F30078 0DE26596
	s_addk_i32 s64, 0x100                                      // 000000005778: B7400100
	s_branch label_040C                                        // 00000000577C: BF82F7AC

0000000000005780 <label_0C60>:
	s_cmp_lt_i32 s64, s63                                      // 000000005780: BF043F40
	s_cbranch_scc0 label_14B4                                  // 000000005784: BF840852
	s_waitcnt vmcnt(10)                                        // 000000005788: BF8C0F7A
	s_lshl_b32 s68, s76, 2                                     // 00000000578C: 8E44824C
	s_cmp_lt_u32 s76, s77                                      // 000000005790: BF0A4D4C
	s_cselect_b32 s68, s68, 0                                  // 000000005794: 85448044
	s_addk_i32 s76, 0x1                                        // 000000005798: B74C0001
	s_load_dword s59, s[42:43], s68                            // 00000000579C: C0000ED5 00000044
	s_waitcnt lgkmcnt(0)                                       // 0000000057A4: BF8CC07F
	s_mul_i32 s69, s59, s50                                    // 0000000057A8: 9245323B
	s_mul_i32 s71, s59, s66                                    // 0000000057AC: 9247423B
	s_mul_i32 s54, s78, s51                                    // 0000000057B0: 9236334E
	s_add_u32 s69, s69, s54                                    // 0000000057B4: 80453645
	s_mov_b32 s70, s69                                         // 0000000057B8: BEC60045
	s_mul_i32 s54, s78, 4                                      // 0000000057BC: 9236844E
	s_add_u32 s71, s71, s54                                    // 0000000057C0: 80473647
	s_add_u32 s12, s86, s69                                    // 0000000057C4: 800C4556
	s_addc_u32 s13, s87, 0                                     // 0000000057C8: 820D8057
	s_add_u32 s16, s88, s70                                    // 0000000057CC: 80104658
	s_addc_u32 s17, s89, 0                                     // 0000000057D0: 82118059
	s_add_u32 s20, s90, s71                                    // 0000000057D4: 8014475A
	s_addc_u32 s21, s91, 0                                     // 0000000057D8: 8215805B
	s_add_u32 s24, s92, s71                                    // 0000000057DC: 8018475C
	s_addc_u32 s25, s93, 0                                     // 0000000057E0: 8219805D
	v_mfma_f32_16x16x32_fp8_fp8 v[4:7], a[24:25], a[0:1], 0    // 0000000057E4: D3F30004 1A020118
	v_mfma_f32_16x16x32_fp8_fp8 v[4:7], a[26:27], a[2:3], v[4:7]// 0000000057EC: D3F30004 1C12051A
	v_mfma_f32_16x16x32_fp8_fp8 v[4:7], a[28:29], a[4:5], v[4:7]// 0000000057F4: D3F30004 1C12091C
	buffer_load_dwordx4 a[56:59], v229, s[12:15], 0 offen      // 0000000057FC: E05C1000 808338E5
	v_mfma_f32_16x16x32_fp8_fp8 v[4:7], a[30:31], a[6:7], v[4:7]// 000000005804: D3F30004 1C120D1E
	v_mfma_f32_16x16x32_fp8_fp8 v[8:11], a[32:33], a[0:1], 0   // 00000000580C: D3F30008 1A020120
	v_mfma_f32_16x16x32_fp8_fp8 v[8:11], a[34:35], a[2:3], v[8:11]// 000000005814: D3F30008 1C220522
	v_mfma_f32_16x16x32_fp8_fp8 v[8:11], a[36:37], a[4:5], v[8:11]// 00000000581C: D3F30008 1C220924
	buffer_load_dwordx4 a[60:63], v230, s[12:15], 0 offen      // 000000005824: E05C1000 80833CE6
	v_mfma_f32_16x16x32_fp8_fp8 v[8:11], a[38:39], a[6:7], v[8:11]// 00000000582C: D3F30008 1C220D26
	v_mfma_f32_16x16x32_fp8_fp8 v[12:15], a[40:41], a[0:1], 0  // 000000005834: D3F3000C 1A020128
	v_mfma_f32_16x16x32_fp8_fp8 v[12:15], a[42:43], a[2:3], v[12:15]// 00000000583C: D3F3000C 1C32052A
	v_mfma_f32_16x16x32_fp8_fp8 v[12:15], a[44:45], a[4:5], v[12:15]// 000000005844: D3F3000C 1C32092C
	buffer_load_dwordx4 a[64:67], v229, s[12:15], 0 offen offset:1024// 00000000584C: E05C1400 808340E5
	v_mfma_f32_16x16x32_fp8_fp8 v[12:15], a[46:47], a[6:7], v[12:15]// 000000005854: D3F3000C 1C320D2E
	v_mfma_f32_16x16x32_fp8_fp8 v[16:19], a[48:49], a[0:1], 0  // 00000000585C: D3F30010 1A020130
	v_mfma_f32_16x16x32_fp8_fp8 v[16:19], a[50:51], a[2:3], v[16:19]// 000000005864: D3F30010 1C420532
	v_mfma_f32_16x16x32_fp8_fp8 v[16:19], a[52:53], a[4:5], v[16:19]// 00000000586C: D3F30010 1C420934
	buffer_load_dwordx4 a[68:71], v230, s[12:15], 0 offen offset:1024// 000000005874: E05C1400 808344E6
	v_mfma_f32_16x16x32_fp8_fp8 v[16:19], a[54:55], a[6:7], v[16:19]// 00000000587C: D3F30010 1C420D36
	v_mfma_f32_16x16x32_fp8_fp8 v[20:23], a[24:25], a[8:9], 0  // 000000005884: D3F30014 1A021118
	v_mfma_f32_16x16x32_fp8_fp8 v[20:23], a[26:27], a[10:11], v[20:23]// 00000000588C: D3F30014 1C52151A
	v_mfma_f32_16x16x32_fp8_fp8 v[20:23], a[28:29], a[12:13], v[20:23]// 000000005894: D3F30014 1C52191C
	buffer_load_dwordx4 a[72:75], v229, s[12:15], 0 offen offset:2048// 00000000589C: E05C1800 808348E5
	v_mfma_f32_16x16x32_fp8_fp8 v[20:23], a[30:31], a[14:15], v[20:23]// 0000000058A4: D3F30014 1C521D1E
	v_mfma_f32_16x16x32_fp8_fp8 v[24:27], a[32:33], a[8:9], 0  // 0000000058AC: D3F30018 1A021120
	v_mfma_f32_16x16x32_fp8_fp8 v[24:27], a[34:35], a[10:11], v[24:27]// 0000000058B4: D3F30018 1C621522
	v_mfma_f32_16x16x32_fp8_fp8 v[24:27], a[36:37], a[12:13], v[24:27]// 0000000058BC: D3F30018 1C621924
	buffer_load_dwordx4 a[76:79], v230, s[12:15], 0 offen offset:2048// 0000000058C4: E05C1800 80834CE6
	v_mfma_f32_16x16x32_fp8_fp8 v[24:27], a[38:39], a[14:15], v[24:27]// 0000000058CC: D3F30018 1C621D26
	v_mfma_f32_16x16x32_fp8_fp8 v[28:31], a[40:41], a[8:9], 0  // 0000000058D4: D3F3001C 1A021128
	v_mfma_f32_16x16x32_fp8_fp8 v[28:31], a[42:43], a[10:11], v[28:31]// 0000000058DC: D3F3001C 1C72152A
	v_mfma_f32_16x16x32_fp8_fp8 v[28:31], a[44:45], a[12:13], v[28:31]// 0000000058E4: D3F3001C 1C72192C
	buffer_load_dwordx4 a[80:83], v229, s[12:15], 0 offen offset:3072// 0000000058EC: E05C1C00 808350E5
	v_mfma_f32_16x16x32_fp8_fp8 v[28:31], a[46:47], a[14:15], v[28:31]// 0000000058F4: D3F3001C 1C721D2E
	v_mfma_f32_16x16x32_fp8_fp8 v[32:35], a[48:49], a[8:9], 0  // 0000000058FC: D3F30020 1A021130
	v_mfma_f32_16x16x32_fp8_fp8 v[32:35], a[50:51], a[10:11], v[32:35]// 000000005904: D3F30020 1C821532
	v_mfma_f32_16x16x32_fp8_fp8 v[32:35], a[52:53], a[12:13], v[32:35]// 00000000590C: D3F30020 1C821934
	buffer_load_dwordx4 a[84:87], v230, s[12:15], 0 offen offset:3072// 000000005914: E05C1C00 808354E6
	v_mfma_f32_16x16x32_fp8_fp8 v[32:35], a[54:55], a[14:15], v[32:35]// 00000000591C: D3F30020 1C821D36
	v_mfma_f32_16x16x32_fp8_fp8 v[36:39], a[24:25], a[16:17], 0// 000000005924: D3F30024 1A022118
	v_mfma_f32_16x16x32_fp8_fp8 v[36:39], a[26:27], a[18:19], v[36:39]// 00000000592C: D3F30024 1C92251A
	v_mfma_f32_16x16x32_fp8_fp8 v[36:39], a[28:29], a[20:21], v[36:39]// 000000005934: D3F30024 1C92291C
	v_mfma_f32_16x16x32_fp8_fp8 v[36:39], a[30:31], a[22:23], v[36:39]// 00000000593C: D3F30024 1C922D1E
	v_mfma_f32_16x16x32_fp8_fp8 v[40:43], a[32:33], a[16:17], 0// 000000005944: D3F30028 1A022120
	v_mfma_f32_16x16x32_fp8_fp8 v[40:43], a[34:35], a[18:19], v[40:43]// 00000000594C: D3F30028 1CA22522
	v_mfma_f32_16x16x32_fp8_fp8 v[40:43], a[36:37], a[20:21], v[40:43]// 000000005954: D3F30028 1CA22924
	v_mfma_f32_16x16x32_fp8_fp8 v[40:43], a[38:39], a[22:23], v[40:43]// 00000000595C: D3F30028 1CA22D26
	v_mfma_f32_16x16x32_fp8_fp8 v[44:47], a[40:41], a[16:17], 0// 000000005964: D3F3002C 1A022128
	v_mfma_f32_16x16x32_fp8_fp8 v[44:47], a[42:43], a[18:19], v[44:47]// 00000000596C: D3F3002C 1CB2252A
	v_mfma_f32_16x16x32_fp8_fp8 v[44:47], a[44:45], a[20:21], v[44:47]// 000000005974: D3F3002C 1CB2292C
	v_mfma_f32_16x16x32_fp8_fp8 v[44:47], a[46:47], a[22:23], v[44:47]// 00000000597C: D3F3002C 1CB22D2E
	v_mfma_f32_16x16x32_fp8_fp8 v[48:51], a[48:49], a[16:17], 0// 000000005984: D3F30030 1A022130
	v_mfma_f32_16x16x32_fp8_fp8 v[48:51], a[50:51], a[18:19], v[48:51]// 00000000598C: D3F30030 1CC22532
	v_mfma_f32_16x16x32_fp8_fp8 v[48:51], a[52:53], a[20:21], v[48:51]// 000000005994: D3F30030 1CC22934
	v_mfma_f32_16x16x32_fp8_fp8 v[48:51], a[54:55], a[22:23], v[48:51]// 00000000599C: D3F30030 1CC22D36
	s_waitcnt vmcnt(16)                                        // 0000000059A4: BF8C4F70
	v_pk_mul_f32 v[4:5], v[148:149], v[4:5]                    // 0000000059A8: D3B14004 18020994
	v_pk_mul_f32 v[6:7], v[148:149], v[6:7]                    // 0000000059B0: D3B14006 18020D94
	v_mul_f32_dpp v4, v154, v4 row_newbcast:0 row_mask:0xf bank_mask:0xf// 0000000059B8: 0A0808FA FF01509A
	v_mul_f32_dpp v5, v154, v5 row_newbcast:1 row_mask:0xf bank_mask:0xf// 0000000059C0: 0A0A0AFA FF01519A
	v_mul_f32_dpp v6, v154, v6 row_newbcast:2 row_mask:0xf bank_mask:0xf// 0000000059C8: 0A0C0CFA FF01529A
	v_mul_f32_dpp v7, v154, v7 row_newbcast:3 row_mask:0xf bank_mask:0xf// 0000000059D0: 0A0E0EFA FF01539A
	v_pk_mul_f32 v[8:9], v[148:149], v[8:9]                    // 0000000059D8: D3B14008 18021194
	v_pk_mul_f32 v[10:11], v[148:149], v[10:11]                // 0000000059E0: D3B1400A 18021594
	v_mul_f32_dpp v8, v154, v8 row_newbcast:4 row_mask:0xf bank_mask:0xf// 0000000059E8: 0A1010FA FF01549A
	v_mul_f32_dpp v9, v154, v9 row_newbcast:5 row_mask:0xf bank_mask:0xf// 0000000059F0: 0A1212FA FF01559A
	v_mul_f32_dpp v10, v154, v10 row_newbcast:6 row_mask:0xf bank_mask:0xf// 0000000059F8: 0A1414FA FF01569A
	v_mul_f32_dpp v11, v154, v11 row_newbcast:7 row_mask:0xf bank_mask:0xf// 000000005A00: 0A1616FA FF01579A
	v_pk_mul_f32 v[12:13], v[148:149], v[12:13]                // 000000005A08: D3B1400C 18021994
	v_pk_mul_f32 v[14:15], v[148:149], v[14:15]                // 000000005A10: D3B1400E 18021D94
	v_mul_f32_dpp v12, v154, v12 row_newbcast:8 row_mask:0xf bank_mask:0xf// 000000005A18: 0A1818FA FF01589A
	v_mul_f32_dpp v13, v154, v13 row_newbcast:9 row_mask:0xf bank_mask:0xf// 000000005A20: 0A1A1AFA FF01599A
	v_mul_f32_dpp v14, v154, v14 row_newbcast:10 row_mask:0xf bank_mask:0xf// 000000005A28: 0A1C1CFA FF015A9A
	v_mul_f32_dpp v15, v154, v15 row_newbcast:11 row_mask:0xf bank_mask:0xf// 000000005A30: 0A1E1EFA FF015B9A
	v_pk_mul_f32 v[16:17], v[148:149], v[16:17]                // 000000005A38: D3B14010 18022194
	v_pk_mul_f32 v[18:19], v[148:149], v[18:19]                // 000000005A40: D3B14012 18022594
	v_mul_f32_dpp v16, v154, v16 row_newbcast:12 row_mask:0xf bank_mask:0xf// 000000005A48: 0A2020FA FF015C9A
	v_mul_f32_dpp v17, v154, v17 row_newbcast:13 row_mask:0xf bank_mask:0xf// 000000005A50: 0A2222FA FF015D9A
	v_mul_f32_dpp v18, v154, v18 row_newbcast:14 row_mask:0xf bank_mask:0xf// 000000005A58: 0A2424FA FF015E9A
	v_mul_f32_dpp v19, v154, v19 row_newbcast:15 row_mask:0xf bank_mask:0xf// 000000005A60: 0A2626FA FF015F9A
	v_pk_mul_f32 v[20:21], v[150:151], v[20:21]                // 000000005A68: D3B14014 18022996
	v_pk_mul_f32 v[22:23], v[150:151], v[22:23]                // 000000005A70: D3B14016 18022D96
	v_mul_f32_dpp v20, v154, v20 row_newbcast:0 row_mask:0xf bank_mask:0xf// 000000005A78: 0A2828FA FF01509A
	v_mul_f32_dpp v21, v154, v21 row_newbcast:1 row_mask:0xf bank_mask:0xf// 000000005A80: 0A2A2AFA FF01519A
	v_mul_f32_dpp v22, v154, v22 row_newbcast:2 row_mask:0xf bank_mask:0xf// 000000005A88: 0A2C2CFA FF01529A
	v_mul_f32_dpp v23, v154, v23 row_newbcast:3 row_mask:0xf bank_mask:0xf// 000000005A90: 0A2E2EFA FF01539A
	v_pk_mul_f32 v[24:25], v[150:151], v[24:25]                // 000000005A98: D3B14018 18023196
	v_pk_mul_f32 v[26:27], v[150:151], v[26:27]                // 000000005AA0: D3B1401A 18023596
	v_mul_f32_dpp v24, v154, v24 row_newbcast:4 row_mask:0xf bank_mask:0xf// 000000005AA8: 0A3030FA FF01549A
	v_mul_f32_dpp v25, v154, v25 row_newbcast:5 row_mask:0xf bank_mask:0xf// 000000005AB0: 0A3232FA FF01559A
	v_mul_f32_dpp v26, v154, v26 row_newbcast:6 row_mask:0xf bank_mask:0xf// 000000005AB8: 0A3434FA FF01569A
	v_mul_f32_dpp v27, v154, v27 row_newbcast:7 row_mask:0xf bank_mask:0xf// 000000005AC0: 0A3636FA FF01579A
	v_pk_mul_f32 v[28:29], v[150:151], v[28:29]                // 000000005AC8: D3B1401C 18023996
	v_pk_mul_f32 v[30:31], v[150:151], v[30:31]                // 000000005AD0: D3B1401E 18023D96
	v_mul_f32_dpp v28, v154, v28 row_newbcast:8 row_mask:0xf bank_mask:0xf// 000000005AD8: 0A3838FA FF01589A
	v_mul_f32_dpp v29, v154, v29 row_newbcast:9 row_mask:0xf bank_mask:0xf// 000000005AE0: 0A3A3AFA FF01599A
	v_mul_f32_dpp v30, v154, v30 row_newbcast:10 row_mask:0xf bank_mask:0xf// 000000005AE8: 0A3C3CFA FF015A9A
	v_mul_f32_dpp v31, v154, v31 row_newbcast:11 row_mask:0xf bank_mask:0xf// 000000005AF0: 0A3E3EFA FF015B9A
	v_pk_mul_f32 v[32:33], v[150:151], v[32:33]                // 000000005AF8: D3B14020 18024196
	v_pk_mul_f32 v[34:35], v[150:151], v[34:35]                // 000000005B00: D3B14022 18024596
	v_mul_f32_dpp v32, v154, v32 row_newbcast:12 row_mask:0xf bank_mask:0xf// 000000005B08: 0A4040FA FF015C9A
	v_mul_f32_dpp v33, v154, v33 row_newbcast:13 row_mask:0xf bank_mask:0xf// 000000005B10: 0A4242FA FF015D9A
	v_mul_f32_dpp v34, v154, v34 row_newbcast:14 row_mask:0xf bank_mask:0xf// 000000005B18: 0A4444FA FF015E9A
	v_mul_f32_dpp v35, v154, v35 row_newbcast:15 row_mask:0xf bank_mask:0xf// 000000005B20: 0A4646FA FF015F9A
	v_pk_mul_f32 v[36:37], v[152:153], v[36:37]                // 000000005B28: D3B14024 18024998
	v_pk_mul_f32 v[38:39], v[152:153], v[38:39]                // 000000005B30: D3B14026 18024D98
	v_mul_f32_dpp v36, v154, v36 row_newbcast:0 row_mask:0xf bank_mask:0xf// 000000005B38: 0A4848FA FF01509A
	v_mul_f32_dpp v37, v154, v37 row_newbcast:1 row_mask:0xf bank_mask:0xf// 000000005B40: 0A4A4AFA FF01519A
	v_mul_f32_dpp v38, v154, v38 row_newbcast:2 row_mask:0xf bank_mask:0xf// 000000005B48: 0A4C4CFA FF01529A
	v_mul_f32_dpp v39, v154, v39 row_newbcast:3 row_mask:0xf bank_mask:0xf// 000000005B50: 0A4E4EFA FF01539A
	v_pk_mul_f32 v[40:41], v[152:153], v[40:41]                // 000000005B58: D3B14028 18025198
	v_pk_mul_f32 v[42:43], v[152:153], v[42:43]                // 000000005B60: D3B1402A 18025598
	v_mul_f32_dpp v40, v154, v40 row_newbcast:4 row_mask:0xf bank_mask:0xf// 000000005B68: 0A5050FA FF01549A
	v_mul_f32_dpp v41, v154, v41 row_newbcast:5 row_mask:0xf bank_mask:0xf// 000000005B70: 0A5252FA FF01559A
	v_mul_f32_dpp v42, v154, v42 row_newbcast:6 row_mask:0xf bank_mask:0xf// 000000005B78: 0A5454FA FF01569A
	v_mul_f32_dpp v43, v154, v43 row_newbcast:7 row_mask:0xf bank_mask:0xf// 000000005B80: 0A5656FA FF01579A
	v_pk_mul_f32 v[44:45], v[152:153], v[44:45]                // 000000005B88: D3B1402C 18025998
	v_pk_mul_f32 v[46:47], v[152:153], v[46:47]                // 000000005B90: D3B1402E 18025D98
	v_mul_f32_dpp v44, v154, v44 row_newbcast:8 row_mask:0xf bank_mask:0xf// 000000005B98: 0A5858FA FF01589A
	v_mul_f32_dpp v45, v154, v45 row_newbcast:9 row_mask:0xf bank_mask:0xf// 000000005BA0: 0A5A5AFA FF01599A
	v_mul_f32_dpp v46, v154, v46 row_newbcast:10 row_mask:0xf bank_mask:0xf// 000000005BA8: 0A5C5CFA FF015A9A
	v_mul_f32_dpp v47, v154, v47 row_newbcast:11 row_mask:0xf bank_mask:0xf// 000000005BB0: 0A5E5EFA FF015B9A
	v_pk_mul_f32 v[48:49], v[152:153], v[48:49]                // 000000005BB8: D3B14030 18026198
	v_pk_mul_f32 v[50:51], v[152:153], v[50:51]                // 000000005BC0: D3B14032 18026598
	v_mul_f32_dpp v48, v154, v48 row_newbcast:12 row_mask:0xf bank_mask:0xf// 000000005BC8: 0A6060FA FF015C9A
	v_mul_f32_dpp v49, v154, v49 row_newbcast:13 row_mask:0xf bank_mask:0xf// 000000005BD0: 0A6262FA FF015D9A
	v_mul_f32_dpp v50, v154, v50 row_newbcast:14 row_mask:0xf bank_mask:0xf// 000000005BD8: 0A6464FA FF015E9A
	v_mul_f32_dpp v51, v154, v51 row_newbcast:15 row_mask:0xf bank_mask:0xf// 000000005BE0: 0A6666FA FF015F9A
	v_mov_b32_e32 v182, v4                                     // 000000005BE8: 7F6C0304
	v_max3_f32 v182, v4, v5, v182                              // 000000005BEC: D1D300B6 06DA0B04
	v_max3_f32 v182, v6, v7, v182                              // 000000005BF4: D1D300B6 06DA0F06
	v_max3_f32 v182, v8, v9, v182                              // 000000005BFC: D1D300B6 06DA1308
	v_max3_f32 v182, v10, v11, v182                            // 000000005C04: D1D300B6 06DA170A
	v_max3_f32 v182, v12, v13, v182                            // 000000005C0C: D1D300B6 06DA1B0C
	v_max3_f32 v182, v14, v15, v182                            // 000000005C14: D1D300B6 06DA1F0E
	v_max3_f32 v182, v16, v17, v182                            // 000000005C1C: D1D300B6 06DA2310
	v_max3_f32 v182, v18, v19, v182                            // 000000005C24: D1D300B6 06DA2712
	v_mov_b32_e32 v183, v20                                    // 000000005C2C: 7F6E0314
	v_max3_f32 v183, v20, v21, v183                            // 000000005C30: D1D300B7 06DE2B14
	v_max3_f32 v183, v22, v23, v183                            // 000000005C38: D1D300B7 06DE2F16
	v_max3_f32 v183, v24, v25, v183                            // 000000005C40: D1D300B7 06DE3318
	v_max3_f32 v183, v26, v27, v183                            // 000000005C48: D1D300B7 06DE371A
	v_max3_f32 v183, v28, v29, v183                            // 000000005C50: D1D300B7 06DE3B1C
	v_max3_f32 v183, v30, v31, v183                            // 000000005C58: D1D300B7 06DE3F1E
	v_max3_f32 v183, v32, v33, v183                            // 000000005C60: D1D300B7 06DE4320
	v_max3_f32 v183, v34, v35, v183                            // 000000005C68: D1D300B7 06DE4722
	v_mov_b32_e32 v184, v36                                    // 000000005C70: 7F700324
	v_max3_f32 v184, v36, v37, v184                            // 000000005C74: D1D300B8 06E24B24
	v_max3_f32 v184, v38, v39, v184                            // 000000005C7C: D1D300B8 06E24F26
	v_max3_f32 v184, v40, v41, v184                            // 000000005C84: D1D300B8 06E25328
	v_max3_f32 v184, v42, v43, v184                            // 000000005C8C: D1D300B8 06E2572A
	v_max3_f32 v184, v44, v45, v184                            // 000000005C94: D1D300B8 06E25B2C
	v_max3_f32 v184, v46, v47, v184                            // 000000005C9C: D1D300B8 06E25F2E
	v_max3_f32 v184, v48, v49, v184                            // 000000005CA4: D1D300B8 06E26330
	v_max3_f32 v184, v50, v51, v184                            // 000000005CAC: D1D300B8 06E26732
	v_pk_mul_f32 v[124:125], v[170:171], v[124:125]            // 000000005CB4: D3B1407C 1802F9AA
	v_pk_mul_f32 v[126:127], v[170:171], v[126:127]            // 000000005CBC: D3B1407E 1802FDAA
	v_pk_mul_f32 v[128:129], v[170:171], v[128:129]            // 000000005CC4: D3B14080 180301AA
	v_pk_mul_f32 v[130:131], v[170:171], v[130:131]            // 000000005CCC: D3B14082 180305AA
	v_pk_mul_f32 v[132:133], v[172:173], v[132:133]            // 000000005CD4: D3B14084 180309AC
	v_pk_mul_f32 v[134:135], v[172:173], v[134:135]            // 000000005CDC: D3B14086 18030DAC
	v_pk_mul_f32 v[136:137], v[172:173], v[136:137]            // 000000005CE4: D3B14088 180311AC
	v_pk_mul_f32 v[138:139], v[172:173], v[138:139]            // 000000005CEC: D3B1408A 180315AC
	v_pk_mul_f32 v[140:141], v[174:175], v[140:141]            // 000000005CF4: D3B1408C 180319AE
	v_pk_mul_f32 v[142:143], v[174:175], v[142:143]            // 000000005CFC: D3B1408E 18031DAE
	v_pk_mul_f32 v[144:145], v[174:175], v[144:145]            // 000000005D04: D3B14090 180321AE
	v_pk_mul_f32 v[146:147], v[174:175], v[146:147]            // 000000005D0C: D3B14092 180325AE
	ds_bpermute_b32 v188, v208, v182                           // 000000005D14: D87E0000 BC00B6D0
	ds_bpermute_b32 v189, v209, v182                           // 000000005D1C: D87E0000 BD00B6D1
	ds_bpermute_b32 v190, v210, v182                           // 000000005D24: D87E0000 BE00B6D2
	ds_bpermute_b32 v191, v208, v183                           // 000000005D2C: D87E0000 BF00B7D0
	ds_bpermute_b32 v192, v209, v183                           // 000000005D34: D87E0000 C000B7D1
	ds_bpermute_b32 v193, v210, v183                           // 000000005D3C: D87E0000 C100B7D2
	ds_bpermute_b32 v194, v208, v184                           // 000000005D44: D87E0000 C200B8D0
	ds_bpermute_b32 v195, v209, v184                           // 000000005D4C: D87E0000 C300B8D1
	ds_bpermute_b32 v196, v210, v184                           // 000000005D54: D87E0000 C400B8D2
	s_waitcnt lgkmcnt(6)                                       // 000000005D5C: BF8CC67F
	v_max3_f32 v182, v188, v189, v182                          // 000000005D60: D1D300B6 06DB7BBC
	v_max_f32_e32 v182, v190, v182                             // 000000005D68: 176D6DBE
	s_waitcnt lgkmcnt(3)                                       // 000000005D6C: BF8CC37F
	v_max3_f32 v183, v191, v192, v183                          // 000000005D70: D1D300B7 06DF81BF
	v_max_f32_e32 v183, v193, v183                             // 000000005D78: 176F6FC1
	s_waitcnt lgkmcnt(0)                                       // 000000005D7C: BF8CC07F
	v_max3_f32 v184, v194, v195, v184                          // 000000005D80: D1D300B8 06E387C2
	v_max_f32_e32 v184, v196, v184                             // 000000005D88: 177171C4
	ds_write_b128 v249, v[182:185]                             // 000000005D8C: D9BE0000 0000B6F9
	s_waitcnt lgkmcnt(0)                                       // 000000005D94: BF8CC07F
	s_barrier                                                  // 000000005D98: BF8A0000
	v_pk_mul_f32 v[100:101], v[158:159], v[100:101]            // 000000005D9C: D3B14064 1802C99E
	v_pk_mul_f32 v[102:103], v[158:159], v[102:103]            // 000000005DA4: D3B14066 1802CD9E
	v_pk_mul_f32 v[104:105], v[158:159], v[104:105]            // 000000005DAC: D3B14068 1802D19E
	v_pk_mul_f32 v[106:107], v[158:159], v[106:107]            // 000000005DB4: D3B1406A 1802D59E
	v_pk_mul_f32 v[108:109], v[160:161], v[108:109]            // 000000005DBC: D3B1406C 1802D9A0
	v_pk_mul_f32 v[110:111], v[160:161], v[110:111]            // 000000005DC4: D3B1406E 1802DDA0
	v_pk_mul_f32 v[112:113], v[160:161], v[112:113]            // 000000005DCC: D3B14070 1802E1A0
	v_pk_mul_f32 v[114:115], v[160:161], v[114:115]            // 000000005DD4: D3B14072 1802E5A0
	v_pk_mul_f32 v[116:117], v[162:163], v[116:117]            // 000000005DDC: D3B14074 1802E9A2
	v_pk_mul_f32 v[118:119], v[162:163], v[118:119]            // 000000005DE4: D3B14076 1802EDA2
	v_pk_mul_f32 v[120:121], v[162:163], v[120:121]            // 000000005DEC: D3B14078 1802F1A2
	v_pk_mul_f32 v[122:123], v[162:163], v[122:123]            // 000000005DF4: D3B1407A 1802F5A2
	ds_read_b128 v[188:191], v250                              // 000000005DFC: D9FE0000 BC0000FA
	ds_read_b128 v[192:195], v250 offset:256                   // 000000005E04: D9FE0100 C00000FA
	ds_read_b128 v[196:199], v250 offset:512                   // 000000005E0C: D9FE0200 C40000FA
	ds_read_b128 v[200:203], v250 offset:768                   // 000000005E14: D9FE0300 C80000FA
	s_waitcnt lgkmcnt(0)                                       // 000000005E1C: BF8CC07F
	v_max3_f32 v182, v188, v192, v182                          // 000000005E20: D1D300B6 06DB81BC
	v_max3_f32 v183, v189, v193, v183                          // 000000005E28: D1D300B7 06DF83BD
	v_max3_f32 v184, v190, v194, v184                          // 000000005E30: D1D300B8 06E385BE
	v_max3_f32 v182, v196, v200, v182                          // 000000005E38: D1D300B6 06DB91C4
	v_max3_f32 v183, v197, v201, v183                          // 000000005E40: D1D300B7 06DF93C5
	v_max3_f32 v184, v198, v202, v184                          // 000000005E48: D1D300B8 06E395C6
	v_max_f32_e32 v167, v182, v164                             // 000000005E50: 174F49B6
	v_mul_f32_e64 v204, -s46, v167                             // 000000005E54: D10500CC 20034E2E
	v_mov_b32_e32 v205, v204                                   // 000000005E5C: 7F9A03CC
	v_pk_fma_f32 v[4:5], v[4:5], s[46:47], v[204:205]          // 000000005E60: D3B04004 1F305D04
	v_pk_fma_f32 v[6:7], v[6:7], s[46:47], v[204:205]          // 000000005E68: D3B04006 1F305D06
	v_exp_f32_e32 v4, v4                                       // 000000005E70: 7E084104
	v_exp_f32_e32 v5, v5                                       // 000000005E74: 7E0A4105
	v_exp_f32_e32 v6, v6                                       // 000000005E78: 7E0C4106
	v_exp_f32_e32 v7, v7                                       // 000000005E7C: 7E0E4107
	v_pk_fma_f32 v[8:9], v[8:9], s[46:47], v[204:205]          // 000000005E80: D3B04008 1F305D08
	v_pk_fma_f32 v[10:11], v[10:11], s[46:47], v[204:205]      // 000000005E88: D3B0400A 1F305D0A
	v_exp_f32_e32 v8, v8                                       // 000000005E90: 7E104108
	v_exp_f32_e32 v9, v9                                       // 000000005E94: 7E124109
	v_exp_f32_e32 v10, v10                                     // 000000005E98: 7E14410A
	v_exp_f32_e32 v11, v11                                     // 000000005E9C: 7E16410B
	v_pk_fma_f32 v[12:13], v[12:13], s[46:47], v[204:205]      // 000000005EA0: D3B0400C 1F305D0C
	v_pk_fma_f32 v[14:15], v[14:15], s[46:47], v[204:205]      // 000000005EA8: D3B0400E 1F305D0E
	v_exp_f32_e32 v12, v12                                     // 000000005EB0: 7E18410C
	v_exp_f32_e32 v13, v13                                     // 000000005EB4: 7E1A410D
	v_exp_f32_e32 v14, v14                                     // 000000005EB8: 7E1C410E
	v_exp_f32_e32 v15, v15                                     // 000000005EBC: 7E1E410F
	v_pk_fma_f32 v[16:17], v[16:17], s[46:47], v[204:205]      // 000000005EC0: D3B04010 1F305D10
	v_pk_fma_f32 v[18:19], v[18:19], s[46:47], v[204:205]      // 000000005EC8: D3B04012 1F305D12
	v_exp_f32_e32 v16, v16                                     // 000000005ED0: 7E204110
	v_exp_f32_e32 v17, v17                                     // 000000005ED4: 7E224111
	v_exp_f32_e32 v18, v18                                     // 000000005ED8: 7E244112
	v_exp_f32_e32 v19, v19                                     // 000000005EDC: 7E264113
	v_max_f32_e32 v168, v183, v165                             // 000000005EE0: 17514BB7
	v_mul_f32_e64 v204, -s46, v168                             // 000000005EE4: D10500CC 2003502E
	v_mov_b32_e32 v205, v204                                   // 000000005EEC: 7F9A03CC
	v_pk_fma_f32 v[20:21], v[20:21], s[46:47], v[204:205]      // 000000005EF0: D3B04014 1F305D14
	v_pk_fma_f32 v[22:23], v[22:23], s[46:47], v[204:205]      // 000000005EF8: D3B04016 1F305D16
	v_exp_f32_e32 v20, v20                                     // 000000005F00: 7E284114
	v_exp_f32_e32 v21, v21                                     // 000000005F04: 7E2A4115
	v_exp_f32_e32 v22, v22                                     // 000000005F08: 7E2C4116
	v_exp_f32_e32 v23, v23                                     // 000000005F0C: 7E2E4117
	v_pk_fma_f32 v[24:25], v[24:25], s[46:47], v[204:205]      // 000000005F10: D3B04018 1F305D18
	v_pk_fma_f32 v[26:27], v[26:27], s[46:47], v[204:205]      // 000000005F18: D3B0401A 1F305D1A
	v_exp_f32_e32 v24, v24                                     // 000000005F20: 7E304118
	v_exp_f32_e32 v25, v25                                     // 000000005F24: 7E324119
	v_exp_f32_e32 v26, v26                                     // 000000005F28: 7E34411A
	v_exp_f32_e32 v27, v27                                     // 000000005F2C: 7E36411B
	v_pk_fma_f32 v[28:29], v[28:29], s[46:47], v[204:205]      // 000000005F30: D3B0401C 1F305D1C
	v_pk_fma_f32 v[30:31], v[30:31], s[46:47], v[204:205]      // 000000005F38: D3B0401E 1F305D1E
	v_exp_f32_e32 v28, v28                                     // 000000005F40: 7E38411C
	v_exp_f32_e32 v29, v29                                     // 000000005F44: 7E3A411D
	v_exp_f32_e32 v30, v30                                     // 000000005F48: 7E3C411E
	v_exp_f32_e32 v31, v31                                     // 000000005F4C: 7E3E411F
	v_pk_fma_f32 v[32:33], v[32:33], s[46:47], v[204:205]      // 000000005F50: D3B04020 1F305D20
	v_pk_fma_f32 v[34:35], v[34:35], s[46:47], v[204:205]      // 000000005F58: D3B04022 1F305D22
	v_exp_f32_e32 v32, v32                                     // 000000005F60: 7E404120
	v_exp_f32_e32 v33, v33                                     // 000000005F64: 7E424121
	v_exp_f32_e32 v34, v34                                     // 000000005F68: 7E444122
	v_exp_f32_e32 v35, v35                                     // 000000005F6C: 7E464123
	v_max_f32_e32 v169, v184, v166                             // 000000005F70: 17534DB8
	v_mul_f32_e64 v204, -s46, v169                             // 000000005F74: D10500CC 2003522E
	v_mov_b32_e32 v205, v204                                   // 000000005F7C: 7F9A03CC
	v_pk_fma_f32 v[36:37], v[36:37], s[46:47], v[204:205]      // 000000005F80: D3B04024 1F305D24
	v_pk_fma_f32 v[38:39], v[38:39], s[46:47], v[204:205]      // 000000005F88: D3B04026 1F305D26
	v_exp_f32_e32 v36, v36                                     // 000000005F90: 7E484124
	v_exp_f32_e32 v37, v37                                     // 000000005F94: 7E4A4125
	v_exp_f32_e32 v38, v38                                     // 000000005F98: 7E4C4126
	v_exp_f32_e32 v39, v39                                     // 000000005F9C: 7E4E4127
	v_pk_fma_f32 v[40:41], v[40:41], s[46:47], v[204:205]      // 000000005FA0: D3B04028 1F305D28
	v_pk_fma_f32 v[42:43], v[42:43], s[46:47], v[204:205]      // 000000005FA8: D3B0402A 1F305D2A
	v_exp_f32_e32 v40, v40                                     // 000000005FB0: 7E504128
	v_exp_f32_e32 v41, v41                                     // 000000005FB4: 7E524129
	v_exp_f32_e32 v42, v42                                     // 000000005FB8: 7E54412A
	v_exp_f32_e32 v43, v43                                     // 000000005FBC: 7E56412B
	v_pk_fma_f32 v[44:45], v[44:45], s[46:47], v[204:205]      // 000000005FC0: D3B0402C 1F305D2C
	v_pk_fma_f32 v[46:47], v[46:47], s[46:47], v[204:205]      // 000000005FC8: D3B0402E 1F305D2E
	v_exp_f32_e32 v44, v44                                     // 000000005FD0: 7E58412C
	v_exp_f32_e32 v45, v45                                     // 000000005FD4: 7E5A412D
	v_exp_f32_e32 v46, v46                                     // 000000005FD8: 7E5C412E
	v_exp_f32_e32 v47, v47                                     // 000000005FDC: 7E5E412F
	v_pk_fma_f32 v[48:49], v[48:49], s[46:47], v[204:205]      // 000000005FE0: D3B04030 1F305D30
	v_pk_fma_f32 v[50:51], v[50:51], s[46:47], v[204:205]      // 000000005FE8: D3B04032 1F305D32
	v_exp_f32_e32 v48, v48                                     // 000000005FF0: 7E604130
	v_exp_f32_e32 v49, v49                                     // 000000005FF4: 7E624131
	v_exp_f32_e32 v50, v50                                     // 000000005FF8: 7E644132
	v_exp_f32_e32 v51, v51                                     // 000000005FFC: 7E664133
	v_mul_f32_dpp v52, v156, v4 row_newbcast:0 row_mask:0xf bank_mask:0xf// 000000006000: 0A6808FA FF01509C
	v_mul_f32_dpp v53, v156, v5 row_newbcast:1 row_mask:0xf bank_mask:0xf// 000000006008: 0A6A0AFA FF01519C
	v_mul_f32_dpp v54, v156, v6 row_newbcast:2 row_mask:0xf bank_mask:0xf// 000000006010: 0A6C0CFA FF01529C
	v_mul_f32_dpp v55, v156, v7 row_newbcast:3 row_mask:0xf bank_mask:0xf// 000000006018: 0A6E0EFA FF01539C
	v_mul_f32_dpp v56, v156, v8 row_newbcast:4 row_mask:0xf bank_mask:0xf// 000000006020: 0A7010FA FF01549C
	v_mul_f32_dpp v57, v156, v9 row_newbcast:5 row_mask:0xf bank_mask:0xf// 000000006028: 0A7212FA FF01559C
	v_mul_f32_dpp v58, v156, v10 row_newbcast:6 row_mask:0xf bank_mask:0xf// 000000006030: 0A7414FA FF01569C
	v_mul_f32_dpp v59, v156, v11 row_newbcast:7 row_mask:0xf bank_mask:0xf// 000000006038: 0A7616FA FF01579C
	v_mul_f32_dpp v60, v156, v12 row_newbcast:8 row_mask:0xf bank_mask:0xf// 000000006040: 0A7818FA FF01589C
	v_mul_f32_dpp v61, v156, v13 row_newbcast:9 row_mask:0xf bank_mask:0xf// 000000006048: 0A7A1AFA FF01599C
	v_mul_f32_dpp v62, v156, v14 row_newbcast:10 row_mask:0xf bank_mask:0xf// 000000006050: 0A7C1CFA FF015A9C
	v_mul_f32_dpp v63, v156, v15 row_newbcast:11 row_mask:0xf bank_mask:0xf// 000000006058: 0A7E1EFA FF015B9C
	v_mul_f32_dpp v64, v156, v16 row_newbcast:12 row_mask:0xf bank_mask:0xf// 000000006060: 0A8020FA FF015C9C
	v_mul_f32_dpp v65, v156, v17 row_newbcast:13 row_mask:0xf bank_mask:0xf// 000000006068: 0A8222FA FF015D9C
	v_mul_f32_dpp v66, v156, v18 row_newbcast:14 row_mask:0xf bank_mask:0xf// 000000006070: 0A8424FA FF015E9C
	v_mul_f32_dpp v67, v156, v19 row_newbcast:15 row_mask:0xf bank_mask:0xf// 000000006078: 0A8626FA FF015F9C
	v_mul_f32_dpp v68, v156, v20 row_newbcast:0 row_mask:0xf bank_mask:0xf// 000000006080: 0A8828FA FF01509C
	v_mul_f32_dpp v69, v156, v21 row_newbcast:1 row_mask:0xf bank_mask:0xf// 000000006088: 0A8A2AFA FF01519C
	v_mul_f32_dpp v70, v156, v22 row_newbcast:2 row_mask:0xf bank_mask:0xf// 000000006090: 0A8C2CFA FF01529C
	v_mul_f32_dpp v71, v156, v23 row_newbcast:3 row_mask:0xf bank_mask:0xf// 000000006098: 0A8E2EFA FF01539C
	v_mul_f32_dpp v72, v156, v24 row_newbcast:4 row_mask:0xf bank_mask:0xf// 0000000060A0: 0A9030FA FF01549C
	v_mul_f32_dpp v73, v156, v25 row_newbcast:5 row_mask:0xf bank_mask:0xf// 0000000060A8: 0A9232FA FF01559C
	v_mul_f32_dpp v74, v156, v26 row_newbcast:6 row_mask:0xf bank_mask:0xf// 0000000060B0: 0A9434FA FF01569C
	v_mul_f32_dpp v75, v156, v27 row_newbcast:7 row_mask:0xf bank_mask:0xf// 0000000060B8: 0A9636FA FF01579C
	v_mul_f32_dpp v76, v156, v28 row_newbcast:8 row_mask:0xf bank_mask:0xf// 0000000060C0: 0A9838FA FF01589C
	v_mul_f32_dpp v77, v156, v29 row_newbcast:9 row_mask:0xf bank_mask:0xf// 0000000060C8: 0A9A3AFA FF01599C
	v_mul_f32_dpp v78, v156, v30 row_newbcast:10 row_mask:0xf bank_mask:0xf// 0000000060D0: 0A9C3CFA FF015A9C
	v_mul_f32_dpp v79, v156, v31 row_newbcast:11 row_mask:0xf bank_mask:0xf// 0000000060D8: 0A9E3EFA FF015B9C
	v_mul_f32_dpp v80, v156, v32 row_newbcast:12 row_mask:0xf bank_mask:0xf// 0000000060E0: 0AA040FA FF015C9C
	v_mul_f32_dpp v81, v156, v33 row_newbcast:13 row_mask:0xf bank_mask:0xf// 0000000060E8: 0AA242FA FF015D9C
	v_mul_f32_dpp v82, v156, v34 row_newbcast:14 row_mask:0xf bank_mask:0xf// 0000000060F0: 0AA444FA FF015E9C
	v_mul_f32_dpp v83, v156, v35 row_newbcast:15 row_mask:0xf bank_mask:0xf// 0000000060F8: 0AA646FA FF015F9C
	v_mul_f32_dpp v84, v156, v36 row_newbcast:0 row_mask:0xf bank_mask:0xf// 000000006100: 0AA848FA FF01509C
	v_mul_f32_dpp v85, v156, v37 row_newbcast:1 row_mask:0xf bank_mask:0xf// 000000006108: 0AAA4AFA FF01519C
	v_mul_f32_dpp v86, v156, v38 row_newbcast:2 row_mask:0xf bank_mask:0xf// 000000006110: 0AAC4CFA FF01529C
	v_mul_f32_dpp v87, v156, v39 row_newbcast:3 row_mask:0xf bank_mask:0xf// 000000006118: 0AAE4EFA FF01539C
	v_mul_f32_dpp v88, v156, v40 row_newbcast:4 row_mask:0xf bank_mask:0xf// 000000006120: 0AB050FA FF01549C
	v_mul_f32_dpp v89, v156, v41 row_newbcast:5 row_mask:0xf bank_mask:0xf// 000000006128: 0AB252FA FF01559C
	v_mul_f32_dpp v90, v156, v42 row_newbcast:6 row_mask:0xf bank_mask:0xf// 000000006130: 0AB454FA FF01569C
	v_mul_f32_dpp v91, v156, v43 row_newbcast:7 row_mask:0xf bank_mask:0xf// 000000006138: 0AB656FA FF01579C
	v_mul_f32_dpp v92, v156, v44 row_newbcast:8 row_mask:0xf bank_mask:0xf// 000000006140: 0AB858FA FF01589C
	v_mul_f32_dpp v93, v156, v45 row_newbcast:9 row_mask:0xf bank_mask:0xf// 000000006148: 0ABA5AFA FF01599C
	v_mul_f32_dpp v94, v156, v46 row_newbcast:10 row_mask:0xf bank_mask:0xf// 000000006150: 0ABC5CFA FF015A9C
	v_mul_f32_dpp v95, v156, v47 row_newbcast:11 row_mask:0xf bank_mask:0xf// 000000006158: 0ABE5EFA FF015B9C
	v_mul_f32_dpp v96, v156, v48 row_newbcast:12 row_mask:0xf bank_mask:0xf// 000000006160: 0AC060FA FF015C9C
	v_mul_f32_dpp v97, v156, v49 row_newbcast:13 row_mask:0xf bank_mask:0xf// 000000006168: 0AC262FA FF015D9C
	v_mul_f32_dpp v98, v156, v50 row_newbcast:14 row_mask:0xf bank_mask:0xf// 000000006170: 0AC464FA FF015E9C
	v_mul_f32_dpp v99, v156, v51 row_newbcast:15 row_mask:0xf bank_mask:0xf// 000000006178: 0AC666FA FF015F9C
	buffer_load_dword v155, v235, s[20:23], 0 offen            // 000000006180: E0501000 80059BEB
	v_sub_f32_e32 v170, v164, v167                             // 000000006188: 05554FA4
	v_cmp_eq_u32_e64 s[98:99], v222, v164                      // 00000000618C: D0CA0062 000349DE
	v_cndmask_b32_e64 v170, v170, 0, s[98:99]                  // 000000006194: D10000AA 018901AA
	v_mov_b32_e32 v164, v167                                   // 00000000619C: 7F4803A7
	v_mul_f32_e32 v170, s46, v170                              // 0000000061A0: 0B55542E
	v_exp_f32_e32 v170, v170                                   // 0000000061A4: 7F5441AA
	v_sub_f32_e32 v172, v165, v168                             // 0000000061A8: 055951A5
	v_cmp_eq_u32_e64 s[98:99], v222, v165                      // 0000000061AC: D0CA0062 00034BDE
	v_cndmask_b32_e64 v172, v172, 0, s[98:99]                  // 0000000061B4: D10000AC 018901AC
	v_mov_b32_e32 v165, v168                                   // 0000000061BC: 7F4A03A8
	v_mul_f32_e32 v172, s46, v172                              // 0000000061C0: 0B59582E
	v_exp_f32_e32 v172, v172                                   // 0000000061C4: 7F5841AC
	v_sub_f32_e32 v174, v166, v169                             // 0000000061C8: 055D53A6
	v_cmp_eq_u32_e64 s[98:99], v222, v166                      // 0000000061CC: D0CA0062 00034DDE
	v_cndmask_b32_e64 v174, v174, 0, s[98:99]                  // 0000000061D4: D10000AE 018901AE
	v_mov_b32_e32 v166, v169                                   // 0000000061DC: 7F4C03A9
	v_mul_f32_e32 v174, s46, v174                              // 0000000061E0: 0B5D5C2E
	v_exp_f32_e32 v174, v174                                   // 0000000061E4: 7F5C41AE
	v_mov_b32_e32 v171, v170                                   // 0000000061E8: 7F5603AA
	v_mov_b32_e32 v173, v172                                   // 0000000061EC: 7F5A03AC
	v_mov_b32_e32 v175, v174                                   // 0000000061F0: 7F5E03AE
	s_waitcnt lgkmcnt(0)                                       // 0000000061F4: BF8CC07F
	s_barrier                                                  // 0000000061F8: BF8A0000
	buffer_load_dword v157, v236, s[24:27], 0 offen            // 0000000061FC: E0501000 80069DEC
	v_mul_f32_e32 v176, v170, v176                             // 000000006204: 0B6161AA
	v_mov_b32_e32 v177, 0                                      // 000000006208: 7F620280
	v_pk_add_f32 v[176:177], v[4:5], v[176:177]                // 00000000620C: D3B240B0 18036104
	v_pk_add_f32 v[176:177], v[6:7], v[176:177]                // 000000006214: D3B240B0 18036106
	v_pk_add_f32 v[176:177], v[8:9], v[176:177]                // 00000000621C: D3B240B0 18036108
	v_pk_add_f32 v[176:177], v[10:11], v[176:177]              // 000000006224: D3B240B0 1803610A
	v_pk_add_f32 v[176:177], v[12:13], v[176:177]              // 00000000622C: D3B240B0 1803610C
	v_pk_add_f32 v[176:177], v[14:15], v[176:177]              // 000000006234: D3B240B0 1803610E
	v_pk_add_f32 v[176:177], v[16:17], v[176:177]              // 00000000623C: D3B240B0 18036110
	v_pk_add_f32 v[176:177], v[18:19], v[176:177]              // 000000006244: D3B240B0 18036112
	v_add_f32_e32 v176, v177, v176                             // 00000000624C: 036161B1
	v_mul_f32_e32 v178, v172, v178                             // 000000006250: 0B6565AC
	v_mov_b32_e32 v179, 0                                      // 000000006254: 7F660280
	v_pk_add_f32 v[178:179], v[20:21], v[178:179]              // 000000006258: D3B240B2 18036514
	v_pk_add_f32 v[178:179], v[22:23], v[178:179]              // 000000006260: D3B240B2 18036516
	;; [unrolled: 1-line block ×3, first 2 shown]
	v_pk_add_f32 v[178:179], v[26:27], v[178:179]              // 000000006270: D3B240B2 1803651A
	v_pk_add_f32 v[178:179], v[28:29], v[178:179]              // 000000006278: D3B240B2 1803651C
	v_pk_add_f32 v[178:179], v[30:31], v[178:179]              // 000000006280: D3B240B2 1803651E
	v_pk_add_f32 v[178:179], v[32:33], v[178:179]              // 000000006288: D3B240B2 18036520
	v_pk_add_f32 v[178:179], v[34:35], v[178:179]              // 000000006290: D3B240B2 18036522
	v_add_f32_e32 v178, v179, v178                             // 000000006298: 036565B3
	v_mul_f32_e32 v180, v174, v180                             // 00000000629C: 0B6969AE
	v_mov_b32_e32 v181, 0                                      // 0000000062A0: 7F6A0280
	v_pk_add_f32 v[180:181], v[36:37], v[180:181]              // 0000000062A4: D3B240B4 18036924
	v_pk_add_f32 v[180:181], v[38:39], v[180:181]              // 0000000062AC: D3B240B4 18036926
	v_pk_add_f32 v[180:181], v[40:41], v[180:181]              // 0000000062B4: D3B240B4 18036928
	v_pk_add_f32 v[180:181], v[42:43], v[180:181]              // 0000000062BC: D3B240B4 1803692A
	v_pk_add_f32 v[180:181], v[44:45], v[180:181]              // 0000000062C4: D3B240B4 1803692C
	v_pk_add_f32 v[180:181], v[46:47], v[180:181]              // 0000000062CC: D3B240B4 1803692E
	v_pk_add_f32 v[180:181], v[48:49], v[180:181]              // 0000000062D4: D3B240B4 18036930
	v_pk_add_f32 v[180:181], v[50:51], v[180:181]              // 0000000062DC: D3B240B4 18036932
	v_add_f32_e32 v180, v181, v180                             // 0000000062E4: 036969B5
	s_waitcnt lgkmcnt(0)                                       // 0000000062E8: BF8CC07F
	v_sub_f32_e32 v182, v182, v164                             // 0000000062EC: 056D49B6
	v_sub_f32_e32 v183, v183, v165                             // 0000000062F0: 056F4BB7
	v_sub_f32_e32 v184, v184, v166                             // 0000000062F4: 05714DB8
	v_mul_f32_e32 v182, s46, v182                              // 0000000062F8: 0B6D6C2E
	v_mul_f32_e32 v183, s46, v183                              // 0000000062FC: 0B6F6E2E
	v_mul_f32_e32 v184, s46, v184                              // 000000006300: 0B71702E
	v_exp_f32_e32 v182, v182                                   // 000000006304: 7F6C41B6
	v_exp_f32_e32 v183, v183                                   // 000000006308: 7F6E41B7
	v_exp_f32_e32 v184, v184                                   // 00000000630C: 7F7041B8
	v_mul_f32_e32 v182, v156, v182                             // 000000006310: 0B6D6D9C
	v_mul_f32_e32 v183, v156, v183                             // 000000006314: 0B6F6F9C
	v_mul_f32_e32 v184, v156, v184                             // 000000006318: 0B71719C
	v_add_f32_e32 v182, 0x3089705f, v182                       // 00000000631C: 036D6CFF 3089705F
	v_add_f32_e32 v183, 0x3089705f, v183                       // 000000006324: 036F6EFF 3089705F
	v_add_f32_e32 v184, 0x3089705f, v184                       // 00000000632C: 037170FF 3089705F
	v_rcp_f32_e32 v182, v182                                   // 000000006334: 7F6C45B6
	v_rcp_f32_e32 v183, v183                                   // 000000006338: 7F6E45B7
	v_rcp_f32_e32 v184, v184                                   // 00000000633C: 7F7045B8
	v_mul_f32_e32 v182, 0x43700000, v182                       // 000000006340: 0B6D6CFF 43700000
	v_mul_f32_e32 v183, 0x43700000, v183                       // 000000006348: 0B6F6EFF 43700000
	v_mul_f32_e32 v184, 0x43700000, v184                       // 000000006350: 0B7170FF 43700000
	v_mov_b32_e32 v186, v184                                   // 000000006358: 7F7403B8
	v_mov_b32_e32 v187, v184                                   // 00000000635C: 7F7603B8
	v_mov_b32_e32 v184, v183                                   // 000000006360: 7F7003B7
	v_mov_b32_e32 v185, v183                                   // 000000006364: 7F7203B7
	v_mov_b32_e32 v183, v182                                   // 000000006368: 7F6E03B6
	v_pk_mul_f32 v[4:5], v[182:183], v[52:53]                  // 00000000636C: D3B14004 180269B6
	v_pk_mul_f32 v[6:7], v[182:183], v[54:55]                  // 000000006374: D3B14006 18026DB6
	v_pk_mul_f32 v[8:9], v[182:183], v[56:57]                  // 00000000637C: D3B14008 180271B6
	v_pk_mul_f32 v[10:11], v[182:183], v[58:59]                // 000000006384: D3B1400A 180275B6
	v_pk_mul_f32 v[12:13], v[182:183], v[60:61]                // 00000000638C: D3B1400C 180279B6
	v_pk_mul_f32 v[14:15], v[182:183], v[62:63]                // 000000006394: D3B1400E 18027DB6
	v_pk_mul_f32 v[16:17], v[182:183], v[64:65]                // 00000000639C: D3B14010 180281B6
	v_pk_mul_f32 v[18:19], v[182:183], v[66:67]                // 0000000063A4: D3B14012 180285B6
	v_pk_mul_f32 v[20:21], v[184:185], v[68:69]                // 0000000063AC: D3B14014 180289B8
	v_pk_mul_f32 v[22:23], v[184:185], v[70:71]                // 0000000063B4: D3B14016 18028DB8
	v_pk_mul_f32 v[24:25], v[184:185], v[72:73]                // 0000000063BC: D3B14018 180291B8
	v_pk_mul_f32 v[26:27], v[184:185], v[74:75]                // 0000000063C4: D3B1401A 180295B8
	v_pk_mul_f32 v[28:29], v[184:185], v[76:77]                // 0000000063CC: D3B1401C 180299B8
	v_pk_mul_f32 v[30:31], v[184:185], v[78:79]                // 0000000063D4: D3B1401E 18029DB8
	v_pk_mul_f32 v[32:33], v[184:185], v[80:81]                // 0000000063DC: D3B14020 1802A1B8
	v_pk_mul_f32 v[34:35], v[184:185], v[82:83]                // 0000000063E4: D3B14022 1802A5B8
	v_pk_mul_f32 v[36:37], v[186:187], v[84:85]                // 0000000063EC: D3B14024 1802A9BA
	v_pk_mul_f32 v[38:39], v[186:187], v[86:87]                // 0000000063F4: D3B14026 1802ADBA
	v_pk_mul_f32 v[40:41], v[186:187], v[88:89]                // 0000000063FC: D3B14028 1802B1BA
	v_pk_mul_f32 v[42:43], v[186:187], v[90:91]                // 000000006404: D3B1402A 1802B5BA
	v_pk_mul_f32 v[44:45], v[186:187], v[92:93]                // 00000000640C: D3B1402C 1802B9BA
	v_pk_mul_f32 v[46:47], v[186:187], v[94:95]                // 000000006414: D3B1402E 1802BDBA
	v_pk_mul_f32 v[48:49], v[186:187], v[96:97]                // 00000000641C: D3B14030 1802C1BA
	v_pk_mul_f32 v[50:51], v[186:187], v[98:99]                // 000000006424: D3B14032 1802C5BA
	v_cvt_pk_fp8_f32 v4, v4, v5                                // 00000000642C: D2A20004 00020B04
	v_cvt_pk_fp8_f32 v4, v6, v7 op_sel:[0,0,1]                 // 000000006434: D2A24004 00020F06
	v_cvt_pk_fp8_f32 v5, v8, v9                                // 00000000643C: D2A20005 00021308
	v_cvt_pk_fp8_f32 v5, v10, v11 op_sel:[0,0,1]               // 000000006444: D2A24005 0002170A
	v_cvt_pk_fp8_f32 v6, v12, v13                              // 00000000644C: D2A20006 00021B0C
	v_cvt_pk_fp8_f32 v6, v14, v15 op_sel:[0,0,1]               // 000000006454: D2A24006 00021F0E
	v_cvt_pk_fp8_f32 v7, v16, v17                              // 00000000645C: D2A20007 00022310
	v_cvt_pk_fp8_f32 v7, v18, v19 op_sel:[0,0,1]               // 000000006464: D2A24007 00022712
	v_cvt_pk_fp8_f32 v8, v20, v21                              // 00000000646C: D2A20008 00022B14
	v_cvt_pk_fp8_f32 v8, v22, v23 op_sel:[0,0,1]               // 000000006474: D2A24008 00022F16
	v_cvt_pk_fp8_f32 v9, v24, v25                              // 00000000647C: D2A20009 00023318
	v_cvt_pk_fp8_f32 v9, v26, v27 op_sel:[0,0,1]               // 000000006484: D2A24009 0002371A
	v_cvt_pk_fp8_f32 v10, v28, v29                             // 00000000648C: D2A2000A 00023B1C
	v_cvt_pk_fp8_f32 v10, v30, v31 op_sel:[0,0,1]              // 000000006494: D2A2400A 00023F1E
	v_cvt_pk_fp8_f32 v11, v32, v33                             // 00000000649C: D2A2000B 00024320
	v_cvt_pk_fp8_f32 v11, v34, v35 op_sel:[0,0,1]              // 0000000064A4: D2A2400B 00024722
	v_cvt_pk_fp8_f32 v12, v36, v37                             // 0000000064AC: D2A2000C 00024B24
	v_cvt_pk_fp8_f32 v12, v38, v39 op_sel:[0,0,1]              // 0000000064B4: D2A2400C 00024F26
	v_cvt_pk_fp8_f32 v13, v40, v41                             // 0000000064BC: D2A2000D 00025328
	v_cvt_pk_fp8_f32 v13, v42, v43 op_sel:[0,0,1]              // 0000000064C4: D2A2400D 0002572A
	v_cvt_pk_fp8_f32 v14, v44, v45                             // 0000000064CC: D2A2000E 00025B2C
	v_cvt_pk_fp8_f32 v14, v46, v47 op_sel:[0,0,1]              // 0000000064D4: D2A2400E 00025F2E
	v_cvt_pk_fp8_f32 v15, v48, v49                             // 0000000064DC: D2A2000F 00026330
	v_cvt_pk_fp8_f32 v15, v50, v51 op_sel:[0,0,1]              // 0000000064E4: D2A2400F 00026732
	ds_write_b32 v251, v4 offset:8192                          // 0000000064EC: D81A2000 000004FB
	ds_write_b32 v251, v5 offset:9216                          // 0000000064F4: D81A2400 000005FB
	ds_write_b32 v251, v6 offset:10240                         // 0000000064FC: D81A2800 000006FB
	ds_write_b32 v251, v7 offset:11264                         // 000000006504: D81A2C00 000007FB
	ds_write_b32 v251, v8 offset:12288                         // 00000000650C: D81A3000 000008FB
	ds_write_b32 v251, v9 offset:13312                         // 000000006514: D81A3400 000009FB
	ds_write_b32 v251, v10 offset:14336                        // 00000000651C: D81A3800 00000AFB
	ds_write_b32 v251, v11 offset:15360                        // 000000006524: D81A3C00 00000BFB
	ds_write_b32 v251, v12 offset:16384                        // 00000000652C: D81A4000 00000CFB
	ds_write_b32 v251, v13 offset:17408                        // 000000006534: D81A4400 00000DFB
	ds_write_b32 v251, v14 offset:18432                        // 00000000653C: D81A4800 00000EFB
	ds_write_b32 v251, v15 offset:19456                        // 000000006544: D81A4C00 00000FFB
	v_rcp_f32_e32 v158, v182                                   // 00000000654C: 7F3C45B6
	v_rcp_f32_e32 v160, v184                                   // 000000006550: 7F4045B8
	v_rcp_f32_e32 v162, v186                                   // 000000006554: 7F4445BA
	v_mov_b32_e32 v159, v158                                   // 000000006558: 7F3E039E
	v_mov_b32_e32 v161, v160                                   // 00000000655C: 7F4203A0
	v_mov_b32_e32 v163, v162                                   // 000000006560: 7F4603A2
	v_pk_add_f32 v[124:125], v[124:125], v[100:101]            // 000000006564: D3B2407C 1802C97C
	v_pk_add_f32 v[126:127], v[126:127], v[102:103]            // 00000000656C: D3B2407E 1802CD7E
	v_pk_add_f32 v[128:129], v[128:129], v[104:105]            // 000000006574: D3B24080 1802D180
	v_pk_add_f32 v[130:131], v[130:131], v[106:107]            // 00000000657C: D3B24082 1802D582
	v_pk_add_f32 v[132:133], v[132:133], v[108:109]            // 000000006584: D3B24084 1802D984
	v_pk_add_f32 v[134:135], v[134:135], v[110:111]            // 00000000658C: D3B24086 1802DD86
	v_pk_add_f32 v[136:137], v[136:137], v[112:113]            // 000000006594: D3B24088 1802E188
	v_pk_add_f32 v[138:139], v[138:139], v[114:115]            // 00000000659C: D3B2408A 1802E58A
	v_pk_add_f32 v[140:141], v[140:141], v[116:117]            // 0000000065A4: D3B2408C 1802E98C
	v_pk_add_f32 v[142:143], v[142:143], v[118:119]            // 0000000065AC: D3B2408E 1802ED8E
	v_pk_add_f32 v[144:145], v[144:145], v[120:121]            // 0000000065B4: D3B24090 1802F190
	v_pk_add_f32 v[146:147], v[146:147], v[122:123]            // 0000000065BC: D3B24092 1802F592
	s_waitcnt lgkmcnt(0)                                       // 0000000065C4: BF8CC07F
	s_barrier                                                  // 0000000065C8: BF8A0000
	ds_read_b128 v[4:7], v252 offset:8192                      // 0000000065CC: D9FE2000 040000FC
	ds_read_b128 v[8:11], v252 offset:9216                     // 0000000065D4: D9FE2400 080000FC
	ds_read_b128 v[12:15], v252 offset:10240                   // 0000000065DC: D9FE2800 0C0000FC
	ds_read_b128 v[16:19], v252 offset:11264                   // 0000000065E4: D9FE2C00 100000FC
	ds_read_b128 v[20:23], v252 offset:12288                   // 0000000065EC: D9FE3000 140000FC
	ds_read_b128 v[24:27], v252 offset:13312                   // 0000000065F4: D9FE3400 180000FC
	ds_read_b128 v[28:31], v252 offset:14336                   // 0000000065FC: D9FE3800 1C0000FC
	ds_read_b128 v[32:35], v252 offset:15360                   // 000000006604: D9FE3C00 200000FC
	ds_read_b128 v[36:39], v252 offset:16384                   // 00000000660C: D9FE4000 240000FC
	ds_read_b128 v[40:43], v252 offset:17408                   // 000000006614: D9FE4400 280000FC
	ds_read_b128 v[44:47], v252 offset:18432                   // 00000000661C: D9FE4800 2C0000FC
	ds_read_b128 v[48:51], v252 offset:19456                   // 000000006624: D9FE4C00 300000FC
	s_waitcnt vmcnt(10)                                        // 00000000662C: BF8C0F7A
	s_waitcnt lgkmcnt(11)                                      // 000000006630: BF8CCB7F
	v_mfma_f32_16x16x32_fp8_fp8 v[100:103], a[88:89], v[4:5], 0// 000000006634: D3F30064 0A020958
	v_mfma_f32_16x16x32_fp8_fp8 v[104:107], a[104:105], v[4:5], 0// 00000000663C: D3F30068 0A020968
	v_mfma_f32_16x16x32_fp8_fp8 v[100:103], a[90:91], v[6:7], v[100:103]// 000000006644: D3F30064 0D920D5A
	buffer_load_dwordx4 a[120:123], v231, s[16:19], 0 offen    // 00000000664C: E05C1000 808478E7
	v_mfma_f32_16x16x32_fp8_fp8 v[104:107], a[106:107], v[6:7], v[104:107]// 000000006654: D3F30068 0DA20D6A
	s_waitcnt lgkmcnt(10)                                      // 00000000665C: BF8CCA7F
	v_mfma_f32_16x16x32_fp8_fp8 v[100:103], a[92:93], v[8:9], v[100:103]// 000000006660: D3F30064 0D92115C
	v_mfma_f32_16x16x32_fp8_fp8 v[104:107], a[108:109], v[8:9], v[104:107]// 000000006668: D3F30068 0DA2116C
	v_mfma_f32_16x16x32_fp8_fp8 v[100:103], a[94:95], v[10:11], v[100:103]// 000000006670: D3F30064 0D92155E
	buffer_load_dwordx4 a[124:127], v232, s[16:19], 0 offen    // 000000006678: E05C1000 80847CE8
	v_mfma_f32_16x16x32_fp8_fp8 v[104:107], a[110:111], v[10:11], v[104:107]// 000000006680: D3F30068 0DA2156E
	s_waitcnt lgkmcnt(9)                                       // 000000006688: BF8CC97F
	v_mfma_f32_16x16x32_fp8_fp8 v[100:103], a[96:97], v[12:13], v[100:103]// 00000000668C: D3F30064 0D921960
	v_mfma_f32_16x16x32_fp8_fp8 v[104:107], a[112:113], v[12:13], v[104:107]// 000000006694: D3F30068 0DA21970
	v_mfma_f32_16x16x32_fp8_fp8 v[100:103], a[98:99], v[14:15], v[100:103]// 00000000669C: D3F30064 0D921D62
	buffer_load_dwordx4 a[128:131], v233, s[16:19], 0 offen    // 0000000066A4: E05C1000 808480E9
	v_mfma_f32_16x16x32_fp8_fp8 v[104:107], a[114:115], v[14:15], v[104:107]// 0000000066AC: D3F30068 0DA21D72
	s_waitcnt lgkmcnt(8)                                       // 0000000066B4: BF8CC87F
	v_mfma_f32_16x16x32_fp8_fp8 v[100:103], a[100:101], v[16:17], v[100:103]// 0000000066B8: D3F30064 0D922164
	v_mfma_f32_16x16x32_fp8_fp8 v[104:107], a[116:117], v[16:17], v[104:107]// 0000000066C0: D3F30068 0DA22174
	v_mfma_f32_16x16x32_fp8_fp8 v[100:103], a[102:103], v[18:19], v[100:103]// 0000000066C8: D3F30064 0D922566
	buffer_load_dwordx4 a[132:135], v234, s[16:19], 0 offen    // 0000000066D0: E05C1000 808484EA
	v_mfma_f32_16x16x32_fp8_fp8 v[104:107], a[118:119], v[18:19], v[104:107]// 0000000066D8: D3F30068 0DA22576
	s_waitcnt lgkmcnt(7)                                       // 0000000066E0: BF8CC77F
	v_mfma_f32_16x16x32_fp8_fp8 v[108:111], a[88:89], v[20:21], 0// 0000000066E4: D3F3006C 0A022958
	v_mfma_f32_16x16x32_fp8_fp8 v[112:115], a[104:105], v[20:21], 0// 0000000066EC: D3F30070 0A022968
	v_mfma_f32_16x16x32_fp8_fp8 v[108:111], a[90:91], v[22:23], v[108:111]// 0000000066F4: D3F3006C 0DB22D5A
	buffer_load_dwordx4 a[136:139], v231, s[16:19], 0 offen offset:1024// 0000000066FC: E05C1400 808488E7
	v_mfma_f32_16x16x32_fp8_fp8 v[112:115], a[106:107], v[22:23], v[112:115]// 000000006704: D3F30070 0DC22D6A
	s_waitcnt lgkmcnt(6)                                       // 00000000670C: BF8CC67F
	v_mfma_f32_16x16x32_fp8_fp8 v[108:111], a[92:93], v[24:25], v[108:111]// 000000006710: D3F3006C 0DB2315C
	v_mfma_f32_16x16x32_fp8_fp8 v[112:115], a[108:109], v[24:25], v[112:115]// 000000006718: D3F30070 0DC2316C
	v_mfma_f32_16x16x32_fp8_fp8 v[108:111], a[94:95], v[26:27], v[108:111]// 000000006720: D3F3006C 0DB2355E
	buffer_load_dwordx4 a[140:143], v232, s[16:19], 0 offen offset:1024// 000000006728: E05C1400 80848CE8
	v_mfma_f32_16x16x32_fp8_fp8 v[112:115], a[110:111], v[26:27], v[112:115]// 000000006730: D3F30070 0DC2356E
	s_waitcnt lgkmcnt(5)                                       // 000000006738: BF8CC57F
	v_mfma_f32_16x16x32_fp8_fp8 v[108:111], a[96:97], v[28:29], v[108:111]// 00000000673C: D3F3006C 0DB23960
	v_mfma_f32_16x16x32_fp8_fp8 v[112:115], a[112:113], v[28:29], v[112:115]// 000000006744: D3F30070 0DC23970
	v_mfma_f32_16x16x32_fp8_fp8 v[108:111], a[98:99], v[30:31], v[108:111]// 00000000674C: D3F3006C 0DB23D62
	buffer_load_dwordx4 a[144:147], v233, s[16:19], 0 offen offset:1024// 000000006754: E05C1400 808490E9
	v_mfma_f32_16x16x32_fp8_fp8 v[112:115], a[114:115], v[30:31], v[112:115]// 00000000675C: D3F30070 0DC23D72
	s_waitcnt lgkmcnt(4)                                       // 000000006764: BF8CC47F
	v_mfma_f32_16x16x32_fp8_fp8 v[108:111], a[100:101], v[32:33], v[108:111]// 000000006768: D3F3006C 0DB24164
	v_mfma_f32_16x16x32_fp8_fp8 v[112:115], a[116:117], v[32:33], v[112:115]// 000000006770: D3F30070 0DC24174
	v_mfma_f32_16x16x32_fp8_fp8 v[108:111], a[102:103], v[34:35], v[108:111]// 000000006778: D3F3006C 0DB24566
	buffer_load_dwordx4 a[148:151], v234, s[16:19], 0 offen offset:1024// 000000006780: E05C1400 808494EA
	v_mfma_f32_16x16x32_fp8_fp8 v[112:115], a[118:119], v[34:35], v[112:115]// 000000006788: D3F30070 0DC24576
	s_waitcnt lgkmcnt(3)                                       // 000000006790: BF8CC37F
	v_mfma_f32_16x16x32_fp8_fp8 v[116:119], a[88:89], v[36:37], 0// 000000006794: D3F30074 0A024958
	v_mfma_f32_16x16x32_fp8_fp8 v[120:123], a[104:105], v[36:37], 0// 00000000679C: D3F30078 0A024968
	v_mfma_f32_16x16x32_fp8_fp8 v[116:119], a[90:91], v[38:39], v[116:119]// 0000000067A4: D3F30074 0DD24D5A
	v_mfma_f32_16x16x32_fp8_fp8 v[120:123], a[106:107], v[38:39], v[120:123]// 0000000067AC: D3F30078 0DE24D6A
	s_waitcnt lgkmcnt(2)                                       // 0000000067B4: BF8CC27F
	v_mfma_f32_16x16x32_fp8_fp8 v[116:119], a[92:93], v[40:41], v[116:119]// 0000000067B8: D3F30074 0DD2515C
	v_mfma_f32_16x16x32_fp8_fp8 v[120:123], a[108:109], v[40:41], v[120:123]// 0000000067C0: D3F30078 0DE2516C
	v_mfma_f32_16x16x32_fp8_fp8 v[116:119], a[94:95], v[42:43], v[116:119]// 0000000067C8: D3F30074 0DD2555E
	v_mfma_f32_16x16x32_fp8_fp8 v[120:123], a[110:111], v[42:43], v[120:123]// 0000000067D0: D3F30078 0DE2556E
	s_waitcnt lgkmcnt(1)                                       // 0000000067D8: BF8CC17F
	v_mfma_f32_16x16x32_fp8_fp8 v[116:119], a[96:97], v[44:45], v[116:119]// 0000000067DC: D3F30074 0DD25960
	v_mfma_f32_16x16x32_fp8_fp8 v[120:123], a[112:113], v[44:45], v[120:123]// 0000000067E4: D3F30078 0DE25970
	v_mfma_f32_16x16x32_fp8_fp8 v[116:119], a[98:99], v[46:47], v[116:119]// 0000000067EC: D3F30074 0DD25D62
	v_mfma_f32_16x16x32_fp8_fp8 v[120:123], a[114:115], v[46:47], v[120:123]// 0000000067F4: D3F30078 0DE25D72
	s_waitcnt lgkmcnt(0)                                       // 0000000067FC: BF8CC07F
	v_mfma_f32_16x16x32_fp8_fp8 v[116:119], a[100:101], v[48:49], v[116:119]// 000000006800: D3F30074 0DD26164
	v_mfma_f32_16x16x32_fp8_fp8 v[120:123], a[116:117], v[48:49], v[120:123]// 000000006808: D3F30078 0DE26174
	v_mfma_f32_16x16x32_fp8_fp8 v[116:119], a[102:103], v[50:51], v[116:119]// 000000006810: D3F30074 0DD26566
	v_mfma_f32_16x16x32_fp8_fp8 v[120:123], a[118:119], v[50:51], v[120:123]// 000000006818: D3F30078 0DE26576
	s_addk_i32 s64, 0x100                                      // 000000006820: B7400100
	s_branch label_108A                                        // 000000006824: BF820000

0000000000006828 <label_108A>:
	s_cmp_lt_i32 s64, s63                                      // 000000006828: BF043F40
	s_cbranch_scc0 label_1BFD                                  // 00000000682C: BF840B71
	s_waitcnt vmcnt(10)                                        // 000000006830: BF8C0F7A
	s_lshl_b32 s68, s76, 2                                     // 000000006834: 8E44824C
	s_cmp_lt_u32 s76, s77                                      // 000000006838: BF0A4D4C
	s_cselect_b32 s68, s68, 0                                  // 00000000683C: 85448044
	s_addk_i32 s76, 0x1                                        // 000000006840: B74C0001
	s_load_dword s59, s[42:43], s68                            // 000000006844: C0000ED5 00000044
	s_waitcnt lgkmcnt(0)                                       // 00000000684C: BF8CC07F
	s_mul_i32 s69, s59, s50                                    // 000000006850: 9245323B
	s_mul_i32 s71, s59, s66                                    // 000000006854: 9247423B
	s_mul_i32 s54, s78, s51                                    // 000000006858: 9236334E
	s_add_u32 s69, s69, s54                                    // 00000000685C: 80453645
	s_mov_b32 s70, s69                                         // 000000006860: BEC60045
	s_mul_i32 s54, s78, 4                                      // 000000006864: 9236844E
	s_add_u32 s71, s71, s54                                    // 000000006868: 80473647
	s_add_u32 s12, s86, s69                                    // 00000000686C: 800C4556
	s_addc_u32 s13, s87, 0                                     // 000000006870: 820D8057
	s_add_u32 s16, s88, s70                                    // 000000006874: 80104658
	s_addc_u32 s17, s89, 0                                     // 000000006878: 82118059
	s_add_u32 s20, s90, s71                                    // 00000000687C: 8014475A
	s_addc_u32 s21, s91, 0                                     // 000000006880: 8215805B
	s_add_u32 s24, s92, s71                                    // 000000006884: 8018475C
	s_addc_u32 s25, s93, 0                                     // 000000006888: 8219805D
	v_mfma_f32_16x16x32_fp8_fp8 v[4:7], a[56:57], a[0:1], 0    // 00000000688C: D3F30004 1A020138
	v_mfma_f32_16x16x32_fp8_fp8 v[4:7], a[58:59], a[2:3], v[4:7]// 000000006894: D3F30004 1C12053A
	v_mfma_f32_16x16x32_fp8_fp8 v[4:7], a[60:61], a[4:5], v[4:7]// 00000000689C: D3F30004 1C12093C
	buffer_load_dwordx4 a[24:27], v229, s[12:15], 0 offen      // 0000000068A4: E05C1000 808318E5
	v_mfma_f32_16x16x32_fp8_fp8 v[4:7], a[62:63], a[6:7], v[4:7]// 0000000068AC: D3F30004 1C120D3E
	v_mfma_f32_16x16x32_fp8_fp8 v[8:11], a[64:65], a[0:1], 0   // 0000000068B4: D3F30008 1A020140
	v_mfma_f32_16x16x32_fp8_fp8 v[8:11], a[66:67], a[2:3], v[8:11]// 0000000068BC: D3F30008 1C220542
	v_mfma_f32_16x16x32_fp8_fp8 v[8:11], a[68:69], a[4:5], v[8:11]// 0000000068C4: D3F30008 1C220944
	buffer_load_dwordx4 a[28:31], v230, s[12:15], 0 offen      // 0000000068CC: E05C1000 80831CE6
	v_mfma_f32_16x16x32_fp8_fp8 v[8:11], a[70:71], a[6:7], v[8:11]// 0000000068D4: D3F30008 1C220D46
	v_mfma_f32_16x16x32_fp8_fp8 v[12:15], a[72:73], a[0:1], 0  // 0000000068DC: D3F3000C 1A020148
	v_mfma_f32_16x16x32_fp8_fp8 v[12:15], a[74:75], a[2:3], v[12:15]// 0000000068E4: D3F3000C 1C32054A
	v_mfma_f32_16x16x32_fp8_fp8 v[12:15], a[76:77], a[4:5], v[12:15]// 0000000068EC: D3F3000C 1C32094C
	buffer_load_dwordx4 a[32:35], v229, s[12:15], 0 offen offset:1024// 0000000068F4: E05C1400 808320E5
	v_mfma_f32_16x16x32_fp8_fp8 v[12:15], a[78:79], a[6:7], v[12:15]// 0000000068FC: D3F3000C 1C320D4E
	v_mfma_f32_16x16x32_fp8_fp8 v[16:19], a[80:81], a[0:1], 0  // 000000006904: D3F30010 1A020150
	v_mfma_f32_16x16x32_fp8_fp8 v[16:19], a[82:83], a[2:3], v[16:19]// 00000000690C: D3F30010 1C420552
	v_mfma_f32_16x16x32_fp8_fp8 v[16:19], a[84:85], a[4:5], v[16:19]// 000000006914: D3F30010 1C420954
	buffer_load_dwordx4 a[36:39], v230, s[12:15], 0 offen offset:1024// 00000000691C: E05C1400 808324E6
	v_mfma_f32_16x16x32_fp8_fp8 v[16:19], a[86:87], a[6:7], v[16:19]// 000000006924: D3F30010 1C420D56
	v_mfma_f32_16x16x32_fp8_fp8 v[20:23], a[56:57], a[8:9], 0  // 00000000692C: D3F30014 1A021138
	v_mfma_f32_16x16x32_fp8_fp8 v[20:23], a[58:59], a[10:11], v[20:23]// 000000006934: D3F30014 1C52153A
	v_mfma_f32_16x16x32_fp8_fp8 v[20:23], a[60:61], a[12:13], v[20:23]// 00000000693C: D3F30014 1C52193C
	buffer_load_dwordx4 a[40:43], v229, s[12:15], 0 offen offset:2048// 000000006944: E05C1800 808328E5
	v_mfma_f32_16x16x32_fp8_fp8 v[20:23], a[62:63], a[14:15], v[20:23]// 00000000694C: D3F30014 1C521D3E
	v_mfma_f32_16x16x32_fp8_fp8 v[24:27], a[64:65], a[8:9], 0  // 000000006954: D3F30018 1A021140
	v_mfma_f32_16x16x32_fp8_fp8 v[24:27], a[66:67], a[10:11], v[24:27]// 00000000695C: D3F30018 1C621542
	v_mfma_f32_16x16x32_fp8_fp8 v[24:27], a[68:69], a[12:13], v[24:27]// 000000006964: D3F30018 1C621944
	buffer_load_dwordx4 a[44:47], v230, s[12:15], 0 offen offset:2048// 00000000696C: E05C1800 80832CE6
	v_mfma_f32_16x16x32_fp8_fp8 v[24:27], a[70:71], a[14:15], v[24:27]// 000000006974: D3F30018 1C621D46
	v_mfma_f32_16x16x32_fp8_fp8 v[28:31], a[72:73], a[8:9], 0  // 00000000697C: D3F3001C 1A021148
	v_mfma_f32_16x16x32_fp8_fp8 v[28:31], a[74:75], a[10:11], v[28:31]// 000000006984: D3F3001C 1C72154A
	v_mfma_f32_16x16x32_fp8_fp8 v[28:31], a[76:77], a[12:13], v[28:31]// 00000000698C: D3F3001C 1C72194C
	buffer_load_dwordx4 a[48:51], v229, s[12:15], 0 offen offset:3072// 000000006994: E05C1C00 808330E5
	v_mfma_f32_16x16x32_fp8_fp8 v[28:31], a[78:79], a[14:15], v[28:31]// 00000000699C: D3F3001C 1C721D4E
	v_mfma_f32_16x16x32_fp8_fp8 v[32:35], a[80:81], a[8:9], 0  // 0000000069A4: D3F30020 1A021150
	v_mfma_f32_16x16x32_fp8_fp8 v[32:35], a[82:83], a[10:11], v[32:35]// 0000000069AC: D3F30020 1C821552
	v_mfma_f32_16x16x32_fp8_fp8 v[32:35], a[84:85], a[12:13], v[32:35]// 0000000069B4: D3F30020 1C821954
	buffer_load_dwordx4 a[52:55], v230, s[12:15], 0 offen offset:3072// 0000000069BC: E05C1C00 808334E6
	v_mfma_f32_16x16x32_fp8_fp8 v[32:35], a[86:87], a[14:15], v[32:35]// 0000000069C4: D3F30020 1C821D56
	v_mfma_f32_16x16x32_fp8_fp8 v[36:39], a[56:57], a[16:17], 0// 0000000069CC: D3F30024 1A022138
	v_mfma_f32_16x16x32_fp8_fp8 v[36:39], a[58:59], a[18:19], v[36:39]// 0000000069D4: D3F30024 1C92253A
	v_mfma_f32_16x16x32_fp8_fp8 v[36:39], a[60:61], a[20:21], v[36:39]// 0000000069DC: D3F30024 1C92293C
	v_mfma_f32_16x16x32_fp8_fp8 v[36:39], a[62:63], a[22:23], v[36:39]// 0000000069E4: D3F30024 1C922D3E
	v_mfma_f32_16x16x32_fp8_fp8 v[40:43], a[64:65], a[16:17], 0// 0000000069EC: D3F30028 1A022140
	v_mfma_f32_16x16x32_fp8_fp8 v[40:43], a[66:67], a[18:19], v[40:43]// 0000000069F4: D3F30028 1CA22542
	v_mfma_f32_16x16x32_fp8_fp8 v[40:43], a[68:69], a[20:21], v[40:43]// 0000000069FC: D3F30028 1CA22944
	v_mfma_f32_16x16x32_fp8_fp8 v[40:43], a[70:71], a[22:23], v[40:43]// 000000006A04: D3F30028 1CA22D46
	v_mfma_f32_16x16x32_fp8_fp8 v[44:47], a[72:73], a[16:17], 0// 000000006A0C: D3F3002C 1A022148
	v_mfma_f32_16x16x32_fp8_fp8 v[44:47], a[74:75], a[18:19], v[44:47]// 000000006A14: D3F3002C 1CB2254A
	v_mfma_f32_16x16x32_fp8_fp8 v[44:47], a[76:77], a[20:21], v[44:47]// 000000006A1C: D3F3002C 1CB2294C
	v_mfma_f32_16x16x32_fp8_fp8 v[44:47], a[78:79], a[22:23], v[44:47]// 000000006A24: D3F3002C 1CB22D4E
	v_mfma_f32_16x16x32_fp8_fp8 v[48:51], a[80:81], a[16:17], 0// 000000006A2C: D3F30030 1A022150
	v_mfma_f32_16x16x32_fp8_fp8 v[48:51], a[82:83], a[18:19], v[48:51]// 000000006A34: D3F30030 1CC22552
	v_mfma_f32_16x16x32_fp8_fp8 v[48:51], a[84:85], a[20:21], v[48:51]// 000000006A3C: D3F30030 1CC22954
	v_mfma_f32_16x16x32_fp8_fp8 v[48:51], a[86:87], a[22:23], v[48:51]// 000000006A44: D3F30030 1CC22D56
	s_waitcnt vmcnt(16)                                        // 000000006A4C: BF8C4F70
	v_pk_mul_f32 v[4:5], v[148:149], v[4:5]                    // 000000006A50: D3B14004 18020994
	v_pk_mul_f32 v[6:7], v[148:149], v[6:7]                    // 000000006A58: D3B14006 18020D94
	v_mul_f32_dpp v4, v155, v4 row_newbcast:0 row_mask:0xf bank_mask:0xf// 000000006A60: 0A0808FA FF01509B
	v_mul_f32_dpp v5, v155, v5 row_newbcast:1 row_mask:0xf bank_mask:0xf// 000000006A68: 0A0A0AFA FF01519B
	v_mul_f32_dpp v6, v155, v6 row_newbcast:2 row_mask:0xf bank_mask:0xf// 000000006A70: 0A0C0CFA FF01529B
	v_mul_f32_dpp v7, v155, v7 row_newbcast:3 row_mask:0xf bank_mask:0xf// 000000006A78: 0A0E0EFA FF01539B
	v_pk_mul_f32 v[8:9], v[148:149], v[8:9]                    // 000000006A80: D3B14008 18021194
	v_pk_mul_f32 v[10:11], v[148:149], v[10:11]                // 000000006A88: D3B1400A 18021594
	v_mul_f32_dpp v8, v155, v8 row_newbcast:4 row_mask:0xf bank_mask:0xf// 000000006A90: 0A1010FA FF01549B
	v_mul_f32_dpp v9, v155, v9 row_newbcast:5 row_mask:0xf bank_mask:0xf// 000000006A98: 0A1212FA FF01559B
	v_mul_f32_dpp v10, v155, v10 row_newbcast:6 row_mask:0xf bank_mask:0xf// 000000006AA0: 0A1414FA FF01569B
	v_mul_f32_dpp v11, v155, v11 row_newbcast:7 row_mask:0xf bank_mask:0xf// 000000006AA8: 0A1616FA FF01579B
	v_pk_mul_f32 v[12:13], v[148:149], v[12:13]                // 000000006AB0: D3B1400C 18021994
	v_pk_mul_f32 v[14:15], v[148:149], v[14:15]                // 000000006AB8: D3B1400E 18021D94
	v_mul_f32_dpp v12, v155, v12 row_newbcast:8 row_mask:0xf bank_mask:0xf// 000000006AC0: 0A1818FA FF01589B
	v_mul_f32_dpp v13, v155, v13 row_newbcast:9 row_mask:0xf bank_mask:0xf// 000000006AC8: 0A1A1AFA FF01599B
	v_mul_f32_dpp v14, v155, v14 row_newbcast:10 row_mask:0xf bank_mask:0xf// 000000006AD0: 0A1C1CFA FF015A9B
	v_mul_f32_dpp v15, v155, v15 row_newbcast:11 row_mask:0xf bank_mask:0xf// 000000006AD8: 0A1E1EFA FF015B9B
	v_pk_mul_f32 v[16:17], v[148:149], v[16:17]                // 000000006AE0: D3B14010 18022194
	v_pk_mul_f32 v[18:19], v[148:149], v[18:19]                // 000000006AE8: D3B14012 18022594
	v_mul_f32_dpp v16, v155, v16 row_newbcast:12 row_mask:0xf bank_mask:0xf// 000000006AF0: 0A2020FA FF015C9B
	v_mul_f32_dpp v17, v155, v17 row_newbcast:13 row_mask:0xf bank_mask:0xf// 000000006AF8: 0A2222FA FF015D9B
	v_mul_f32_dpp v18, v155, v18 row_newbcast:14 row_mask:0xf bank_mask:0xf// 000000006B00: 0A2424FA FF015E9B
	v_mul_f32_dpp v19, v155, v19 row_newbcast:15 row_mask:0xf bank_mask:0xf// 000000006B08: 0A2626FA FF015F9B
	v_pk_mul_f32 v[20:21], v[150:151], v[20:21]                // 000000006B10: D3B14014 18022996
	v_pk_mul_f32 v[22:23], v[150:151], v[22:23]                // 000000006B18: D3B14016 18022D96
	v_mul_f32_dpp v20, v155, v20 row_newbcast:0 row_mask:0xf bank_mask:0xf// 000000006B20: 0A2828FA FF01509B
	v_mul_f32_dpp v21, v155, v21 row_newbcast:1 row_mask:0xf bank_mask:0xf// 000000006B28: 0A2A2AFA FF01519B
	v_mul_f32_dpp v22, v155, v22 row_newbcast:2 row_mask:0xf bank_mask:0xf// 000000006B30: 0A2C2CFA FF01529B
	v_mul_f32_dpp v23, v155, v23 row_newbcast:3 row_mask:0xf bank_mask:0xf// 000000006B38: 0A2E2EFA FF01539B
	v_pk_mul_f32 v[24:25], v[150:151], v[24:25]                // 000000006B40: D3B14018 18023196
	v_pk_mul_f32 v[26:27], v[150:151], v[26:27]                // 000000006B48: D3B1401A 18023596
	v_mul_f32_dpp v24, v155, v24 row_newbcast:4 row_mask:0xf bank_mask:0xf// 000000006B50: 0A3030FA FF01549B
	v_mul_f32_dpp v25, v155, v25 row_newbcast:5 row_mask:0xf bank_mask:0xf// 000000006B58: 0A3232FA FF01559B
	v_mul_f32_dpp v26, v155, v26 row_newbcast:6 row_mask:0xf bank_mask:0xf// 000000006B60: 0A3434FA FF01569B
	v_mul_f32_dpp v27, v155, v27 row_newbcast:7 row_mask:0xf bank_mask:0xf// 000000006B68: 0A3636FA FF01579B
	v_pk_mul_f32 v[28:29], v[150:151], v[28:29]                // 000000006B70: D3B1401C 18023996
	v_pk_mul_f32 v[30:31], v[150:151], v[30:31]                // 000000006B78: D3B1401E 18023D96
	v_mul_f32_dpp v28, v155, v28 row_newbcast:8 row_mask:0xf bank_mask:0xf// 000000006B80: 0A3838FA FF01589B
	v_mul_f32_dpp v29, v155, v29 row_newbcast:9 row_mask:0xf bank_mask:0xf// 000000006B88: 0A3A3AFA FF01599B
	v_mul_f32_dpp v30, v155, v30 row_newbcast:10 row_mask:0xf bank_mask:0xf// 000000006B90: 0A3C3CFA FF015A9B
	v_mul_f32_dpp v31, v155, v31 row_newbcast:11 row_mask:0xf bank_mask:0xf// 000000006B98: 0A3E3EFA FF015B9B
	v_pk_mul_f32 v[32:33], v[150:151], v[32:33]                // 000000006BA0: D3B14020 18024196
	v_pk_mul_f32 v[34:35], v[150:151], v[34:35]                // 000000006BA8: D3B14022 18024596
	v_mul_f32_dpp v32, v155, v32 row_newbcast:12 row_mask:0xf bank_mask:0xf// 000000006BB0: 0A4040FA FF015C9B
	v_mul_f32_dpp v33, v155, v33 row_newbcast:13 row_mask:0xf bank_mask:0xf// 000000006BB8: 0A4242FA FF015D9B
	v_mul_f32_dpp v34, v155, v34 row_newbcast:14 row_mask:0xf bank_mask:0xf// 000000006BC0: 0A4444FA FF015E9B
	v_mul_f32_dpp v35, v155, v35 row_newbcast:15 row_mask:0xf bank_mask:0xf// 000000006BC8: 0A4646FA FF015F9B
	v_pk_mul_f32 v[36:37], v[152:153], v[36:37]                // 000000006BD0: D3B14024 18024998
	v_pk_mul_f32 v[38:39], v[152:153], v[38:39]                // 000000006BD8: D3B14026 18024D98
	v_mul_f32_dpp v36, v155, v36 row_newbcast:0 row_mask:0xf bank_mask:0xf// 000000006BE0: 0A4848FA FF01509B
	v_mul_f32_dpp v37, v155, v37 row_newbcast:1 row_mask:0xf bank_mask:0xf// 000000006BE8: 0A4A4AFA FF01519B
	v_mul_f32_dpp v38, v155, v38 row_newbcast:2 row_mask:0xf bank_mask:0xf// 000000006BF0: 0A4C4CFA FF01529B
	v_mul_f32_dpp v39, v155, v39 row_newbcast:3 row_mask:0xf bank_mask:0xf// 000000006BF8: 0A4E4EFA FF01539B
	v_pk_mul_f32 v[40:41], v[152:153], v[40:41]                // 000000006C00: D3B14028 18025198
	v_pk_mul_f32 v[42:43], v[152:153], v[42:43]                // 000000006C08: D3B1402A 18025598
	v_mul_f32_dpp v40, v155, v40 row_newbcast:4 row_mask:0xf bank_mask:0xf// 000000006C10: 0A5050FA FF01549B
	v_mul_f32_dpp v41, v155, v41 row_newbcast:5 row_mask:0xf bank_mask:0xf// 000000006C18: 0A5252FA FF01559B
	v_mul_f32_dpp v42, v155, v42 row_newbcast:6 row_mask:0xf bank_mask:0xf// 000000006C20: 0A5454FA FF01569B
	v_mul_f32_dpp v43, v155, v43 row_newbcast:7 row_mask:0xf bank_mask:0xf// 000000006C28: 0A5656FA FF01579B
	v_pk_mul_f32 v[44:45], v[152:153], v[44:45]                // 000000006C30: D3B1402C 18025998
	v_pk_mul_f32 v[46:47], v[152:153], v[46:47]                // 000000006C38: D3B1402E 18025D98
	v_mul_f32_dpp v44, v155, v44 row_newbcast:8 row_mask:0xf bank_mask:0xf// 000000006C40: 0A5858FA FF01589B
	v_mul_f32_dpp v45, v155, v45 row_newbcast:9 row_mask:0xf bank_mask:0xf// 000000006C48: 0A5A5AFA FF01599B
	v_mul_f32_dpp v46, v155, v46 row_newbcast:10 row_mask:0xf bank_mask:0xf// 000000006C50: 0A5C5CFA FF015A9B
	v_mul_f32_dpp v47, v155, v47 row_newbcast:11 row_mask:0xf bank_mask:0xf// 000000006C58: 0A5E5EFA FF015B9B
	v_pk_mul_f32 v[48:49], v[152:153], v[48:49]                // 000000006C60: D3B14030 18026198
	v_pk_mul_f32 v[50:51], v[152:153], v[50:51]                // 000000006C68: D3B14032 18026598
	v_mul_f32_dpp v48, v155, v48 row_newbcast:12 row_mask:0xf bank_mask:0xf// 000000006C70: 0A6060FA FF015C9B
	v_mul_f32_dpp v49, v155, v49 row_newbcast:13 row_mask:0xf bank_mask:0xf// 000000006C78: 0A6262FA FF015D9B
	v_mul_f32_dpp v50, v155, v50 row_newbcast:14 row_mask:0xf bank_mask:0xf// 000000006C80: 0A6464FA FF015E9B
	v_mul_f32_dpp v51, v155, v51 row_newbcast:15 row_mask:0xf bank_mask:0xf// 000000006C88: 0A6666FA FF015F9B
	v_mov_b32_e32 v182, v4                                     // 000000006C90: 7F6C0304
	v_max3_f32 v182, v4, v5, v182                              // 000000006C94: D1D300B6 06DA0B04
	v_max3_f32 v182, v6, v7, v182                              // 000000006C9C: D1D300B6 06DA0F06
	v_max3_f32 v182, v8, v9, v182                              // 000000006CA4: D1D300B6 06DA1308
	v_max3_f32 v182, v10, v11, v182                            // 000000006CAC: D1D300B6 06DA170A
	v_max3_f32 v182, v12, v13, v182                            // 000000006CB4: D1D300B6 06DA1B0C
	v_max3_f32 v182, v14, v15, v182                            // 000000006CBC: D1D300B6 06DA1F0E
	v_max3_f32 v182, v16, v17, v182                            // 000000006CC4: D1D300B6 06DA2310
	v_max3_f32 v182, v18, v19, v182                            // 000000006CCC: D1D300B6 06DA2712
	v_mov_b32_e32 v183, v20                                    // 000000006CD4: 7F6E0314
	v_max3_f32 v183, v20, v21, v183                            // 000000006CD8: D1D300B7 06DE2B14
	v_max3_f32 v183, v22, v23, v183                            // 000000006CE0: D1D300B7 06DE2F16
	v_max3_f32 v183, v24, v25, v183                            // 000000006CE8: D1D300B7 06DE3318
	v_max3_f32 v183, v26, v27, v183                            // 000000006CF0: D1D300B7 06DE371A
	v_max3_f32 v183, v28, v29, v183                            // 000000006CF8: D1D300B7 06DE3B1C
	v_max3_f32 v183, v30, v31, v183                            // 000000006D00: D1D300B7 06DE3F1E
	v_max3_f32 v183, v32, v33, v183                            // 000000006D08: D1D300B7 06DE4320
	v_max3_f32 v183, v34, v35, v183                            // 000000006D10: D1D300B7 06DE4722
	v_mov_b32_e32 v184, v36                                    // 000000006D18: 7F700324
	v_max3_f32 v184, v36, v37, v184                            // 000000006D1C: D1D300B8 06E24B24
	v_max3_f32 v184, v38, v39, v184                            // 000000006D24: D1D300B8 06E24F26
	v_max3_f32 v184, v40, v41, v184                            // 000000006D2C: D1D300B8 06E25328
	v_max3_f32 v184, v42, v43, v184                            // 000000006D34: D1D300B8 06E2572A
	v_max3_f32 v184, v44, v45, v184                            // 000000006D3C: D1D300B8 06E25B2C
	v_max3_f32 v184, v46, v47, v184                            // 000000006D44: D1D300B8 06E25F2E
	v_max3_f32 v184, v48, v49, v184                            // 000000006D4C: D1D300B8 06E26330
	v_max3_f32 v184, v50, v51, v184                            // 000000006D54: D1D300B8 06E26732
	v_pk_mul_f32 v[124:125], v[170:171], v[124:125]            // 000000006D5C: D3B1407C 1802F9AA
	v_pk_mul_f32 v[126:127], v[170:171], v[126:127]            // 000000006D64: D3B1407E 1802FDAA
	v_pk_mul_f32 v[128:129], v[170:171], v[128:129]            // 000000006D6C: D3B14080 180301AA
	v_pk_mul_f32 v[130:131], v[170:171], v[130:131]            // 000000006D74: D3B14082 180305AA
	v_pk_mul_f32 v[132:133], v[172:173], v[132:133]            // 000000006D7C: D3B14084 180309AC
	v_pk_mul_f32 v[134:135], v[172:173], v[134:135]            // 000000006D84: D3B14086 18030DAC
	v_pk_mul_f32 v[136:137], v[172:173], v[136:137]            // 000000006D8C: D3B14088 180311AC
	v_pk_mul_f32 v[138:139], v[172:173], v[138:139]            // 000000006D94: D3B1408A 180315AC
	v_pk_mul_f32 v[140:141], v[174:175], v[140:141]            // 000000006D9C: D3B1408C 180319AE
	v_pk_mul_f32 v[142:143], v[174:175], v[142:143]            // 000000006DA4: D3B1408E 18031DAE
	v_pk_mul_f32 v[144:145], v[174:175], v[144:145]            // 000000006DAC: D3B14090 180321AE
	v_pk_mul_f32 v[146:147], v[174:175], v[146:147]            // 000000006DB4: D3B14092 180325AE
	ds_bpermute_b32 v188, v208, v182                           // 000000006DBC: D87E0000 BC00B6D0
	ds_bpermute_b32 v189, v209, v182                           // 000000006DC4: D87E0000 BD00B6D1
	ds_bpermute_b32 v190, v210, v182                           // 000000006DCC: D87E0000 BE00B6D2
	ds_bpermute_b32 v191, v208, v183                           // 000000006DD4: D87E0000 BF00B7D0
	ds_bpermute_b32 v192, v209, v183                           // 000000006DDC: D87E0000 C000B7D1
	ds_bpermute_b32 v193, v210, v183                           // 000000006DE4: D87E0000 C100B7D2
	ds_bpermute_b32 v194, v208, v184                           // 000000006DEC: D87E0000 C200B8D0
	ds_bpermute_b32 v195, v209, v184                           // 000000006DF4: D87E0000 C300B8D1
	ds_bpermute_b32 v196, v210, v184                           // 000000006DFC: D87E0000 C400B8D2
	s_waitcnt lgkmcnt(6)                                       // 000000006E04: BF8CC67F
	v_max3_f32 v182, v188, v189, v182                          // 000000006E08: D1D300B6 06DB7BBC
	v_max_f32_e32 v182, v190, v182                             // 000000006E10: 176D6DBE
	s_waitcnt lgkmcnt(3)                                       // 000000006E14: BF8CC37F
	v_max3_f32 v183, v191, v192, v183                          // 000000006E18: D1D300B7 06DF81BF
	v_max_f32_e32 v183, v193, v183                             // 000000006E20: 176F6FC1
	s_waitcnt lgkmcnt(0)                                       // 000000006E24: BF8CC07F
	v_max3_f32 v184, v194, v195, v184                          // 000000006E28: D1D300B8 06E387C2
	v_max_f32_e32 v184, v196, v184                             // 000000006E30: 177171C4
	ds_write_b128 v249, v[182:185]                             // 000000006E34: D9BE0000 0000B6F9
	s_waitcnt lgkmcnt(0)                                       // 000000006E3C: BF8CC07F
	s_barrier                                                  // 000000006E40: BF8A0000
	v_pk_mul_f32 v[100:101], v[158:159], v[100:101]            // 000000006E44: D3B14064 1802C99E
	v_pk_mul_f32 v[102:103], v[158:159], v[102:103]            // 000000006E4C: D3B14066 1802CD9E
	v_pk_mul_f32 v[104:105], v[158:159], v[104:105]            // 000000006E54: D3B14068 1802D19E
	v_pk_mul_f32 v[106:107], v[158:159], v[106:107]            // 000000006E5C: D3B1406A 1802D59E
	v_pk_mul_f32 v[108:109], v[160:161], v[108:109]            // 000000006E64: D3B1406C 1802D9A0
	v_pk_mul_f32 v[110:111], v[160:161], v[110:111]            // 000000006E6C: D3B1406E 1802DDA0
	v_pk_mul_f32 v[112:113], v[160:161], v[112:113]            // 000000006E74: D3B14070 1802E1A0
	v_pk_mul_f32 v[114:115], v[160:161], v[114:115]            // 000000006E7C: D3B14072 1802E5A0
	v_pk_mul_f32 v[116:117], v[162:163], v[116:117]            // 000000006E84: D3B14074 1802E9A2
	v_pk_mul_f32 v[118:119], v[162:163], v[118:119]            // 000000006E8C: D3B14076 1802EDA2
	v_pk_mul_f32 v[120:121], v[162:163], v[120:121]            // 000000006E94: D3B14078 1802F1A2
	v_pk_mul_f32 v[122:123], v[162:163], v[122:123]            // 000000006E9C: D3B1407A 1802F5A2
	ds_read_b128 v[188:191], v250                              // 000000006EA4: D9FE0000 BC0000FA
	ds_read_b128 v[192:195], v250 offset:256                   // 000000006EAC: D9FE0100 C00000FA
	ds_read_b128 v[196:199], v250 offset:512                   // 000000006EB4: D9FE0200 C40000FA
	ds_read_b128 v[200:203], v250 offset:768                   // 000000006EBC: D9FE0300 C80000FA
	s_waitcnt lgkmcnt(0)                                       // 000000006EC4: BF8CC07F
	v_max3_f32 v182, v188, v192, v182                          // 000000006EC8: D1D300B6 06DB81BC
	v_max3_f32 v183, v189, v193, v183                          // 000000006ED0: D1D300B7 06DF83BD
	v_max3_f32 v184, v190, v194, v184                          // 000000006ED8: D1D300B8 06E385BE
	v_max3_f32 v182, v196, v200, v182                          // 000000006EE0: D1D300B6 06DB91C4
	v_max3_f32 v183, v197, v201, v183                          // 000000006EE8: D1D300B7 06DF93C5
	v_max3_f32 v184, v198, v202, v184                          // 000000006EF0: D1D300B8 06E395C6
	v_max_f32_e32 v167, v182, v164                             // 000000006EF8: 174F49B6
	v_mul_f32_e64 v204, -s46, v167                             // 000000006EFC: D10500CC 20034E2E
	v_mov_b32_e32 v205, v204                                   // 000000006F04: 7F9A03CC
	v_pk_fma_f32 v[4:5], v[4:5], s[46:47], v[204:205]          // 000000006F08: D3B04004 1F305D04
	v_pk_fma_f32 v[6:7], v[6:7], s[46:47], v[204:205]          // 000000006F10: D3B04006 1F305D06
	v_exp_f32_e32 v4, v4                                       // 000000006F18: 7E084104
	v_exp_f32_e32 v5, v5                                       // 000000006F1C: 7E0A4105
	v_exp_f32_e32 v6, v6                                       // 000000006F20: 7E0C4106
	v_exp_f32_e32 v7, v7                                       // 000000006F24: 7E0E4107
	v_pk_fma_f32 v[8:9], v[8:9], s[46:47], v[204:205]          // 000000006F28: D3B04008 1F305D08
	v_pk_fma_f32 v[10:11], v[10:11], s[46:47], v[204:205]      // 000000006F30: D3B0400A 1F305D0A
	v_exp_f32_e32 v8, v8                                       // 000000006F38: 7E104108
	v_exp_f32_e32 v9, v9                                       // 000000006F3C: 7E124109
	v_exp_f32_e32 v10, v10                                     // 000000006F40: 7E14410A
	v_exp_f32_e32 v11, v11                                     // 000000006F44: 7E16410B
	v_pk_fma_f32 v[12:13], v[12:13], s[46:47], v[204:205]      // 000000006F48: D3B0400C 1F305D0C
	v_pk_fma_f32 v[14:15], v[14:15], s[46:47], v[204:205]      // 000000006F50: D3B0400E 1F305D0E
	v_exp_f32_e32 v12, v12                                     // 000000006F58: 7E18410C
	v_exp_f32_e32 v13, v13                                     // 000000006F5C: 7E1A410D
	v_exp_f32_e32 v14, v14                                     // 000000006F60: 7E1C410E
	v_exp_f32_e32 v15, v15                                     // 000000006F64: 7E1E410F
	v_pk_fma_f32 v[16:17], v[16:17], s[46:47], v[204:205]      // 000000006F68: D3B04010 1F305D10
	v_pk_fma_f32 v[18:19], v[18:19], s[46:47], v[204:205]      // 000000006F70: D3B04012 1F305D12
	v_exp_f32_e32 v16, v16                                     // 000000006F78: 7E204110
	v_exp_f32_e32 v17, v17                                     // 000000006F7C: 7E224111
	v_exp_f32_e32 v18, v18                                     // 000000006F80: 7E244112
	v_exp_f32_e32 v19, v19                                     // 000000006F84: 7E264113
	v_max_f32_e32 v168, v183, v165                             // 000000006F88: 17514BB7
	v_mul_f32_e64 v204, -s46, v168                             // 000000006F8C: D10500CC 2003502E
	v_mov_b32_e32 v205, v204                                   // 000000006F94: 7F9A03CC
	v_pk_fma_f32 v[20:21], v[20:21], s[46:47], v[204:205]      // 000000006F98: D3B04014 1F305D14
	v_pk_fma_f32 v[22:23], v[22:23], s[46:47], v[204:205]      // 000000006FA0: D3B04016 1F305D16
	v_exp_f32_e32 v20, v20                                     // 000000006FA8: 7E284114
	v_exp_f32_e32 v21, v21                                     // 000000006FAC: 7E2A4115
	v_exp_f32_e32 v22, v22                                     // 000000006FB0: 7E2C4116
	v_exp_f32_e32 v23, v23                                     // 000000006FB4: 7E2E4117
	v_pk_fma_f32 v[24:25], v[24:25], s[46:47], v[204:205]      // 000000006FB8: D3B04018 1F305D18
	v_pk_fma_f32 v[26:27], v[26:27], s[46:47], v[204:205]      // 000000006FC0: D3B0401A 1F305D1A
	v_exp_f32_e32 v24, v24                                     // 000000006FC8: 7E304118
	v_exp_f32_e32 v25, v25                                     // 000000006FCC: 7E324119
	v_exp_f32_e32 v26, v26                                     // 000000006FD0: 7E34411A
	v_exp_f32_e32 v27, v27                                     // 000000006FD4: 7E36411B
	v_pk_fma_f32 v[28:29], v[28:29], s[46:47], v[204:205]      // 000000006FD8: D3B0401C 1F305D1C
	v_pk_fma_f32 v[30:31], v[30:31], s[46:47], v[204:205]      // 000000006FE0: D3B0401E 1F305D1E
	v_exp_f32_e32 v28, v28                                     // 000000006FE8: 7E38411C
	v_exp_f32_e32 v29, v29                                     // 000000006FEC: 7E3A411D
	v_exp_f32_e32 v30, v30                                     // 000000006FF0: 7E3C411E
	v_exp_f32_e32 v31, v31                                     // 000000006FF4: 7E3E411F
	v_pk_fma_f32 v[32:33], v[32:33], s[46:47], v[204:205]      // 000000006FF8: D3B04020 1F305D20
	v_pk_fma_f32 v[34:35], v[34:35], s[46:47], v[204:205]      // 000000007000: D3B04022 1F305D22
	v_exp_f32_e32 v32, v32                                     // 000000007008: 7E404120
	v_exp_f32_e32 v33, v33                                     // 00000000700C: 7E424121
	v_exp_f32_e32 v34, v34                                     // 000000007010: 7E444122
	v_exp_f32_e32 v35, v35                                     // 000000007014: 7E464123
	v_max_f32_e32 v169, v184, v166                             // 000000007018: 17534DB8
	v_mul_f32_e64 v204, -s46, v169                             // 00000000701C: D10500CC 2003522E
	v_mov_b32_e32 v205, v204                                   // 000000007024: 7F9A03CC
	v_pk_fma_f32 v[36:37], v[36:37], s[46:47], v[204:205]      // 000000007028: D3B04024 1F305D24
	v_pk_fma_f32 v[38:39], v[38:39], s[46:47], v[204:205]      // 000000007030: D3B04026 1F305D26
	v_exp_f32_e32 v36, v36                                     // 000000007038: 7E484124
	v_exp_f32_e32 v37, v37                                     // 00000000703C: 7E4A4125
	v_exp_f32_e32 v38, v38                                     // 000000007040: 7E4C4126
	v_exp_f32_e32 v39, v39                                     // 000000007044: 7E4E4127
	v_pk_fma_f32 v[40:41], v[40:41], s[46:47], v[204:205]      // 000000007048: D3B04028 1F305D28
	v_pk_fma_f32 v[42:43], v[42:43], s[46:47], v[204:205]      // 000000007050: D3B0402A 1F305D2A
	v_exp_f32_e32 v40, v40                                     // 000000007058: 7E504128
	v_exp_f32_e32 v41, v41                                     // 00000000705C: 7E524129
	v_exp_f32_e32 v42, v42                                     // 000000007060: 7E54412A
	v_exp_f32_e32 v43, v43                                     // 000000007064: 7E56412B
	v_pk_fma_f32 v[44:45], v[44:45], s[46:47], v[204:205]      // 000000007068: D3B0402C 1F305D2C
	v_pk_fma_f32 v[46:47], v[46:47], s[46:47], v[204:205]      // 000000007070: D3B0402E 1F305D2E
	v_exp_f32_e32 v44, v44                                     // 000000007078: 7E58412C
	v_exp_f32_e32 v45, v45                                     // 00000000707C: 7E5A412D
	v_exp_f32_e32 v46, v46                                     // 000000007080: 7E5C412E
	v_exp_f32_e32 v47, v47                                     // 000000007084: 7E5E412F
	v_pk_fma_f32 v[48:49], v[48:49], s[46:47], v[204:205]      // 000000007088: D3B04030 1F305D30
	v_pk_fma_f32 v[50:51], v[50:51], s[46:47], v[204:205]      // 000000007090: D3B04032 1F305D32
	v_exp_f32_e32 v48, v48                                     // 000000007098: 7E604130
	v_exp_f32_e32 v49, v49                                     // 00000000709C: 7E624131
	v_exp_f32_e32 v50, v50                                     // 0000000070A0: 7E644132
	v_exp_f32_e32 v51, v51                                     // 0000000070A4: 7E664133
	v_mul_f32_dpp v52, v157, v4 row_newbcast:0 row_mask:0xf bank_mask:0xf// 0000000070A8: 0A6808FA FF01509D
	v_mul_f32_dpp v53, v157, v5 row_newbcast:1 row_mask:0xf bank_mask:0xf// 0000000070B0: 0A6A0AFA FF01519D
	v_mul_f32_dpp v54, v157, v6 row_newbcast:2 row_mask:0xf bank_mask:0xf// 0000000070B8: 0A6C0CFA FF01529D
	v_mul_f32_dpp v55, v157, v7 row_newbcast:3 row_mask:0xf bank_mask:0xf// 0000000070C0: 0A6E0EFA FF01539D
	v_mul_f32_dpp v56, v157, v8 row_newbcast:4 row_mask:0xf bank_mask:0xf// 0000000070C8: 0A7010FA FF01549D
	v_mul_f32_dpp v57, v157, v9 row_newbcast:5 row_mask:0xf bank_mask:0xf// 0000000070D0: 0A7212FA FF01559D
	v_mul_f32_dpp v58, v157, v10 row_newbcast:6 row_mask:0xf bank_mask:0xf// 0000000070D8: 0A7414FA FF01569D
	v_mul_f32_dpp v59, v157, v11 row_newbcast:7 row_mask:0xf bank_mask:0xf// 0000000070E0: 0A7616FA FF01579D
	v_mul_f32_dpp v60, v157, v12 row_newbcast:8 row_mask:0xf bank_mask:0xf// 0000000070E8: 0A7818FA FF01589D
	v_mul_f32_dpp v61, v157, v13 row_newbcast:9 row_mask:0xf bank_mask:0xf// 0000000070F0: 0A7A1AFA FF01599D
	v_mul_f32_dpp v62, v157, v14 row_newbcast:10 row_mask:0xf bank_mask:0xf// 0000000070F8: 0A7C1CFA FF015A9D
	v_mul_f32_dpp v63, v157, v15 row_newbcast:11 row_mask:0xf bank_mask:0xf// 000000007100: 0A7E1EFA FF015B9D
	v_mul_f32_dpp v64, v157, v16 row_newbcast:12 row_mask:0xf bank_mask:0xf// 000000007108: 0A8020FA FF015C9D
	v_mul_f32_dpp v65, v157, v17 row_newbcast:13 row_mask:0xf bank_mask:0xf// 000000007110: 0A8222FA FF015D9D
	v_mul_f32_dpp v66, v157, v18 row_newbcast:14 row_mask:0xf bank_mask:0xf// 000000007118: 0A8424FA FF015E9D
	v_mul_f32_dpp v67, v157, v19 row_newbcast:15 row_mask:0xf bank_mask:0xf// 000000007120: 0A8626FA FF015F9D
	v_mul_f32_dpp v68, v157, v20 row_newbcast:0 row_mask:0xf bank_mask:0xf// 000000007128: 0A8828FA FF01509D
	v_mul_f32_dpp v69, v157, v21 row_newbcast:1 row_mask:0xf bank_mask:0xf// 000000007130: 0A8A2AFA FF01519D
	v_mul_f32_dpp v70, v157, v22 row_newbcast:2 row_mask:0xf bank_mask:0xf// 000000007138: 0A8C2CFA FF01529D
	v_mul_f32_dpp v71, v157, v23 row_newbcast:3 row_mask:0xf bank_mask:0xf// 000000007140: 0A8E2EFA FF01539D
	v_mul_f32_dpp v72, v157, v24 row_newbcast:4 row_mask:0xf bank_mask:0xf// 000000007148: 0A9030FA FF01549D
	v_mul_f32_dpp v73, v157, v25 row_newbcast:5 row_mask:0xf bank_mask:0xf// 000000007150: 0A9232FA FF01559D
	v_mul_f32_dpp v74, v157, v26 row_newbcast:6 row_mask:0xf bank_mask:0xf// 000000007158: 0A9434FA FF01569D
	v_mul_f32_dpp v75, v157, v27 row_newbcast:7 row_mask:0xf bank_mask:0xf// 000000007160: 0A9636FA FF01579D
	v_mul_f32_dpp v76, v157, v28 row_newbcast:8 row_mask:0xf bank_mask:0xf// 000000007168: 0A9838FA FF01589D
	v_mul_f32_dpp v77, v157, v29 row_newbcast:9 row_mask:0xf bank_mask:0xf// 000000007170: 0A9A3AFA FF01599D
	v_mul_f32_dpp v78, v157, v30 row_newbcast:10 row_mask:0xf bank_mask:0xf// 000000007178: 0A9C3CFA FF015A9D
	v_mul_f32_dpp v79, v157, v31 row_newbcast:11 row_mask:0xf bank_mask:0xf// 000000007180: 0A9E3EFA FF015B9D
	v_mul_f32_dpp v80, v157, v32 row_newbcast:12 row_mask:0xf bank_mask:0xf// 000000007188: 0AA040FA FF015C9D
	v_mul_f32_dpp v81, v157, v33 row_newbcast:13 row_mask:0xf bank_mask:0xf// 000000007190: 0AA242FA FF015D9D
	v_mul_f32_dpp v82, v157, v34 row_newbcast:14 row_mask:0xf bank_mask:0xf// 000000007198: 0AA444FA FF015E9D
	v_mul_f32_dpp v83, v157, v35 row_newbcast:15 row_mask:0xf bank_mask:0xf// 0000000071A0: 0AA646FA FF015F9D
	v_mul_f32_dpp v84, v157, v36 row_newbcast:0 row_mask:0xf bank_mask:0xf// 0000000071A8: 0AA848FA FF01509D
	v_mul_f32_dpp v85, v157, v37 row_newbcast:1 row_mask:0xf bank_mask:0xf// 0000000071B0: 0AAA4AFA FF01519D
	v_mul_f32_dpp v86, v157, v38 row_newbcast:2 row_mask:0xf bank_mask:0xf// 0000000071B8: 0AAC4CFA FF01529D
	v_mul_f32_dpp v87, v157, v39 row_newbcast:3 row_mask:0xf bank_mask:0xf// 0000000071C0: 0AAE4EFA FF01539D
	v_mul_f32_dpp v88, v157, v40 row_newbcast:4 row_mask:0xf bank_mask:0xf// 0000000071C8: 0AB050FA FF01549D
	v_mul_f32_dpp v89, v157, v41 row_newbcast:5 row_mask:0xf bank_mask:0xf// 0000000071D0: 0AB252FA FF01559D
	v_mul_f32_dpp v90, v157, v42 row_newbcast:6 row_mask:0xf bank_mask:0xf// 0000000071D8: 0AB454FA FF01569D
	v_mul_f32_dpp v91, v157, v43 row_newbcast:7 row_mask:0xf bank_mask:0xf// 0000000071E0: 0AB656FA FF01579D
	v_mul_f32_dpp v92, v157, v44 row_newbcast:8 row_mask:0xf bank_mask:0xf// 0000000071E8: 0AB858FA FF01589D
	v_mul_f32_dpp v93, v157, v45 row_newbcast:9 row_mask:0xf bank_mask:0xf// 0000000071F0: 0ABA5AFA FF01599D
	v_mul_f32_dpp v94, v157, v46 row_newbcast:10 row_mask:0xf bank_mask:0xf// 0000000071F8: 0ABC5CFA FF015A9D
	v_mul_f32_dpp v95, v157, v47 row_newbcast:11 row_mask:0xf bank_mask:0xf// 000000007200: 0ABE5EFA FF015B9D
	v_mul_f32_dpp v96, v157, v48 row_newbcast:12 row_mask:0xf bank_mask:0xf// 000000007208: 0AC060FA FF015C9D
	v_mul_f32_dpp v97, v157, v49 row_newbcast:13 row_mask:0xf bank_mask:0xf// 000000007210: 0AC262FA FF015D9D
	v_mul_f32_dpp v98, v157, v50 row_newbcast:14 row_mask:0xf bank_mask:0xf// 000000007218: 0AC464FA FF015E9D
	v_mul_f32_dpp v99, v157, v51 row_newbcast:15 row_mask:0xf bank_mask:0xf// 000000007220: 0AC666FA FF015F9D
	buffer_load_dword v154, v235, s[20:23], 0 offen            // 000000007228: E0501000 80059AEB
	v_sub_f32_e32 v170, v164, v167                             // 000000007230: 05554FA4
	v_cmp_eq_u32_e64 s[98:99], v222, v164                      // 000000007234: D0CA0062 000349DE
	v_cndmask_b32_e64 v170, v170, 0, s[98:99]                  // 00000000723C: D10000AA 018901AA
	v_mov_b32_e32 v164, v167                                   // 000000007244: 7F4803A7
	v_mul_f32_e32 v170, s46, v170                              // 000000007248: 0B55542E
	v_exp_f32_e32 v170, v170                                   // 00000000724C: 7F5441AA
	v_sub_f32_e32 v172, v165, v168                             // 000000007250: 055951A5
	v_cmp_eq_u32_e64 s[98:99], v222, v165                      // 000000007254: D0CA0062 00034BDE
	v_cndmask_b32_e64 v172, v172, 0, s[98:99]                  // 00000000725C: D10000AC 018901AC
	v_mov_b32_e32 v165, v168                                   // 000000007264: 7F4A03A8
	v_mul_f32_e32 v172, s46, v172                              // 000000007268: 0B59582E
	v_exp_f32_e32 v172, v172                                   // 00000000726C: 7F5841AC
	v_sub_f32_e32 v174, v166, v169                             // 000000007270: 055D53A6
	v_cmp_eq_u32_e64 s[98:99], v222, v166                      // 000000007274: D0CA0062 00034DDE
	v_cndmask_b32_e64 v174, v174, 0, s[98:99]                  // 00000000727C: D10000AE 018901AE
	v_mov_b32_e32 v166, v169                                   // 000000007284: 7F4C03A9
	v_mul_f32_e32 v174, s46, v174                              // 000000007288: 0B5D5C2E
	v_exp_f32_e32 v174, v174                                   // 00000000728C: 7F5C41AE
	v_mov_b32_e32 v171, v170                                   // 000000007290: 7F5603AA
	v_mov_b32_e32 v173, v172                                   // 000000007294: 7F5A03AC
	v_mov_b32_e32 v175, v174                                   // 000000007298: 7F5E03AE
	s_waitcnt lgkmcnt(0)                                       // 00000000729C: BF8CC07F
	s_barrier                                                  // 0000000072A0: BF8A0000
	buffer_load_dword v156, v236, s[24:27], 0 offen            // 0000000072A4: E0501000 80069CEC
	v_mul_f32_e32 v176, v170, v176                             // 0000000072AC: 0B6161AA
	v_mov_b32_e32 v177, 0                                      // 0000000072B0: 7F620280
	v_pk_add_f32 v[176:177], v[4:5], v[176:177]                // 0000000072B4: D3B240B0 18036104
	v_pk_add_f32 v[176:177], v[6:7], v[176:177]                // 0000000072BC: D3B240B0 18036106
	v_pk_add_f32 v[176:177], v[8:9], v[176:177]                // 0000000072C4: D3B240B0 18036108
	v_pk_add_f32 v[176:177], v[10:11], v[176:177]              // 0000000072CC: D3B240B0 1803610A
	v_pk_add_f32 v[176:177], v[12:13], v[176:177]              // 0000000072D4: D3B240B0 1803610C
	v_pk_add_f32 v[176:177], v[14:15], v[176:177]              // 0000000072DC: D3B240B0 1803610E
	v_pk_add_f32 v[176:177], v[16:17], v[176:177]              // 0000000072E4: D3B240B0 18036110
	v_pk_add_f32 v[176:177], v[18:19], v[176:177]              // 0000000072EC: D3B240B0 18036112
	v_add_f32_e32 v176, v177, v176                             // 0000000072F4: 036161B1
	v_mul_f32_e32 v178, v172, v178                             // 0000000072F8: 0B6565AC
	v_mov_b32_e32 v179, 0                                      // 0000000072FC: 7F660280
	v_pk_add_f32 v[178:179], v[20:21], v[178:179]              // 000000007300: D3B240B2 18036514
	v_pk_add_f32 v[178:179], v[22:23], v[178:179]              // 000000007308: D3B240B2 18036516
	;; [unrolled: 1-line block ×3, first 2 shown]
	v_pk_add_f32 v[178:179], v[26:27], v[178:179]              // 000000007318: D3B240B2 1803651A
	v_pk_add_f32 v[178:179], v[28:29], v[178:179]              // 000000007320: D3B240B2 1803651C
	v_pk_add_f32 v[178:179], v[30:31], v[178:179]              // 000000007328: D3B240B2 1803651E
	v_pk_add_f32 v[178:179], v[32:33], v[178:179]              // 000000007330: D3B240B2 18036520
	v_pk_add_f32 v[178:179], v[34:35], v[178:179]              // 000000007338: D3B240B2 18036522
	v_add_f32_e32 v178, v179, v178                             // 000000007340: 036565B3
	v_mul_f32_e32 v180, v174, v180                             // 000000007344: 0B6969AE
	v_mov_b32_e32 v181, 0                                      // 000000007348: 7F6A0280
	v_pk_add_f32 v[180:181], v[36:37], v[180:181]              // 00000000734C: D3B240B4 18036924
	v_pk_add_f32 v[180:181], v[38:39], v[180:181]              // 000000007354: D3B240B4 18036926
	v_pk_add_f32 v[180:181], v[40:41], v[180:181]              // 00000000735C: D3B240B4 18036928
	v_pk_add_f32 v[180:181], v[42:43], v[180:181]              // 000000007364: D3B240B4 1803692A
	v_pk_add_f32 v[180:181], v[44:45], v[180:181]              // 00000000736C: D3B240B4 1803692C
	v_pk_add_f32 v[180:181], v[46:47], v[180:181]              // 000000007374: D3B240B4 1803692E
	v_pk_add_f32 v[180:181], v[48:49], v[180:181]              // 00000000737C: D3B240B4 18036930
	v_pk_add_f32 v[180:181], v[50:51], v[180:181]              // 000000007384: D3B240B4 18036932
	v_add_f32_e32 v180, v181, v180                             // 00000000738C: 036969B5
	s_waitcnt lgkmcnt(0)                                       // 000000007390: BF8CC07F
	v_sub_f32_e32 v182, v182, v164                             // 000000007394: 056D49B6
	v_sub_f32_e32 v183, v183, v165                             // 000000007398: 056F4BB7
	v_sub_f32_e32 v184, v184, v166                             // 00000000739C: 05714DB8
	v_mul_f32_e32 v182, s46, v182                              // 0000000073A0: 0B6D6C2E
	v_mul_f32_e32 v183, s46, v183                              // 0000000073A4: 0B6F6E2E
	v_mul_f32_e32 v184, s46, v184                              // 0000000073A8: 0B71702E
	v_exp_f32_e32 v182, v182                                   // 0000000073AC: 7F6C41B6
	v_exp_f32_e32 v183, v183                                   // 0000000073B0: 7F6E41B7
	v_exp_f32_e32 v184, v184                                   // 0000000073B4: 7F7041B8
	v_mul_f32_e32 v182, v157, v182                             // 0000000073B8: 0B6D6D9D
	v_mul_f32_e32 v183, v157, v183                             // 0000000073BC: 0B6F6F9D
	v_mul_f32_e32 v184, v157, v184                             // 0000000073C0: 0B71719D
	v_add_f32_e32 v182, 0x3089705f, v182                       // 0000000073C4: 036D6CFF 3089705F
	v_add_f32_e32 v183, 0x3089705f, v183                       // 0000000073CC: 036F6EFF 3089705F
	v_add_f32_e32 v184, 0x3089705f, v184                       // 0000000073D4: 037170FF 3089705F
	v_rcp_f32_e32 v182, v182                                   // 0000000073DC: 7F6C45B6
	v_rcp_f32_e32 v183, v183                                   // 0000000073E0: 7F6E45B7
	v_rcp_f32_e32 v184, v184                                   // 0000000073E4: 7F7045B8
	v_mul_f32_e32 v182, 0x43700000, v182                       // 0000000073E8: 0B6D6CFF 43700000
	v_mul_f32_e32 v183, 0x43700000, v183                       // 0000000073F0: 0B6F6EFF 43700000
	v_mul_f32_e32 v184, 0x43700000, v184                       // 0000000073F8: 0B7170FF 43700000
	v_mov_b32_e32 v186, v184                                   // 000000007400: 7F7403B8
	v_mov_b32_e32 v187, v184                                   // 000000007404: 7F7603B8
	v_mov_b32_e32 v184, v183                                   // 000000007408: 7F7003B7
	v_mov_b32_e32 v185, v183                                   // 00000000740C: 7F7203B7
	v_mov_b32_e32 v183, v182                                   // 000000007410: 7F6E03B6
	v_pk_mul_f32 v[4:5], v[182:183], v[52:53]                  // 000000007414: D3B14004 180269B6
	v_pk_mul_f32 v[6:7], v[182:183], v[54:55]                  // 00000000741C: D3B14006 18026DB6
	v_pk_mul_f32 v[8:9], v[182:183], v[56:57]                  // 000000007424: D3B14008 180271B6
	v_pk_mul_f32 v[10:11], v[182:183], v[58:59]                // 00000000742C: D3B1400A 180275B6
	v_pk_mul_f32 v[12:13], v[182:183], v[60:61]                // 000000007434: D3B1400C 180279B6
	v_pk_mul_f32 v[14:15], v[182:183], v[62:63]                // 00000000743C: D3B1400E 18027DB6
	v_pk_mul_f32 v[16:17], v[182:183], v[64:65]                // 000000007444: D3B14010 180281B6
	v_pk_mul_f32 v[18:19], v[182:183], v[66:67]                // 00000000744C: D3B14012 180285B6
	v_pk_mul_f32 v[20:21], v[184:185], v[68:69]                // 000000007454: D3B14014 180289B8
	v_pk_mul_f32 v[22:23], v[184:185], v[70:71]                // 00000000745C: D3B14016 18028DB8
	v_pk_mul_f32 v[24:25], v[184:185], v[72:73]                // 000000007464: D3B14018 180291B8
	v_pk_mul_f32 v[26:27], v[184:185], v[74:75]                // 00000000746C: D3B1401A 180295B8
	v_pk_mul_f32 v[28:29], v[184:185], v[76:77]                // 000000007474: D3B1401C 180299B8
	v_pk_mul_f32 v[30:31], v[184:185], v[78:79]                // 00000000747C: D3B1401E 18029DB8
	v_pk_mul_f32 v[32:33], v[184:185], v[80:81]                // 000000007484: D3B14020 1802A1B8
	v_pk_mul_f32 v[34:35], v[184:185], v[82:83]                // 00000000748C: D3B14022 1802A5B8
	v_pk_mul_f32 v[36:37], v[186:187], v[84:85]                // 000000007494: D3B14024 1802A9BA
	v_pk_mul_f32 v[38:39], v[186:187], v[86:87]                // 00000000749C: D3B14026 1802ADBA
	v_pk_mul_f32 v[40:41], v[186:187], v[88:89]                // 0000000074A4: D3B14028 1802B1BA
	v_pk_mul_f32 v[42:43], v[186:187], v[90:91]                // 0000000074AC: D3B1402A 1802B5BA
	v_pk_mul_f32 v[44:45], v[186:187], v[92:93]                // 0000000074B4: D3B1402C 1802B9BA
	v_pk_mul_f32 v[46:47], v[186:187], v[94:95]                // 0000000074BC: D3B1402E 1802BDBA
	v_pk_mul_f32 v[48:49], v[186:187], v[96:97]                // 0000000074C4: D3B14030 1802C1BA
	v_pk_mul_f32 v[50:51], v[186:187], v[98:99]                // 0000000074CC: D3B14032 1802C5BA
	v_cvt_pk_fp8_f32 v4, v4, v5                                // 0000000074D4: D2A20004 00020B04
	v_cvt_pk_fp8_f32 v4, v6, v7 op_sel:[0,0,1]                 // 0000000074DC: D2A24004 00020F06
	v_cvt_pk_fp8_f32 v5, v8, v9                                // 0000000074E4: D2A20005 00021308
	v_cvt_pk_fp8_f32 v5, v10, v11 op_sel:[0,0,1]               // 0000000074EC: D2A24005 0002170A
	v_cvt_pk_fp8_f32 v6, v12, v13                              // 0000000074F4: D2A20006 00021B0C
	v_cvt_pk_fp8_f32 v6, v14, v15 op_sel:[0,0,1]               // 0000000074FC: D2A24006 00021F0E
	v_cvt_pk_fp8_f32 v7, v16, v17                              // 000000007504: D2A20007 00022310
	v_cvt_pk_fp8_f32 v7, v18, v19 op_sel:[0,0,1]               // 00000000750C: D2A24007 00022712
	v_cvt_pk_fp8_f32 v8, v20, v21                              // 000000007514: D2A20008 00022B14
	v_cvt_pk_fp8_f32 v8, v22, v23 op_sel:[0,0,1]               // 00000000751C: D2A24008 00022F16
	v_cvt_pk_fp8_f32 v9, v24, v25                              // 000000007524: D2A20009 00023318
	v_cvt_pk_fp8_f32 v9, v26, v27 op_sel:[0,0,1]               // 00000000752C: D2A24009 0002371A
	v_cvt_pk_fp8_f32 v10, v28, v29                             // 000000007534: D2A2000A 00023B1C
	v_cvt_pk_fp8_f32 v10, v30, v31 op_sel:[0,0,1]              // 00000000753C: D2A2400A 00023F1E
	v_cvt_pk_fp8_f32 v11, v32, v33                             // 000000007544: D2A2000B 00024320
	v_cvt_pk_fp8_f32 v11, v34, v35 op_sel:[0,0,1]              // 00000000754C: D2A2400B 00024722
	v_cvt_pk_fp8_f32 v12, v36, v37                             // 000000007554: D2A2000C 00024B24
	v_cvt_pk_fp8_f32 v12, v38, v39 op_sel:[0,0,1]              // 00000000755C: D2A2400C 00024F26
	v_cvt_pk_fp8_f32 v13, v40, v41                             // 000000007564: D2A2000D 00025328
	v_cvt_pk_fp8_f32 v13, v42, v43 op_sel:[0,0,1]              // 00000000756C: D2A2400D 0002572A
	v_cvt_pk_fp8_f32 v14, v44, v45                             // 000000007574: D2A2000E 00025B2C
	v_cvt_pk_fp8_f32 v14, v46, v47 op_sel:[0,0,1]              // 00000000757C: D2A2400E 00025F2E
	v_cvt_pk_fp8_f32 v15, v48, v49                             // 000000007584: D2A2000F 00026330
	v_cvt_pk_fp8_f32 v15, v50, v51 op_sel:[0,0,1]              // 00000000758C: D2A2400F 00026732
	ds_write_b32 v251, v4 offset:8192                          // 000000007594: D81A2000 000004FB
	ds_write_b32 v251, v5 offset:9216                          // 00000000759C: D81A2400 000005FB
	ds_write_b32 v251, v6 offset:10240                         // 0000000075A4: D81A2800 000006FB
	ds_write_b32 v251, v7 offset:11264                         // 0000000075AC: D81A2C00 000007FB
	ds_write_b32 v251, v8 offset:12288                         // 0000000075B4: D81A3000 000008FB
	ds_write_b32 v251, v9 offset:13312                         // 0000000075BC: D81A3400 000009FB
	ds_write_b32 v251, v10 offset:14336                        // 0000000075C4: D81A3800 00000AFB
	ds_write_b32 v251, v11 offset:15360                        // 0000000075CC: D81A3C00 00000BFB
	ds_write_b32 v251, v12 offset:16384                        // 0000000075D4: D81A4000 00000CFB
	ds_write_b32 v251, v13 offset:17408                        // 0000000075DC: D81A4400 00000DFB
	ds_write_b32 v251, v14 offset:18432                        // 0000000075E4: D81A4800 00000EFB
	ds_write_b32 v251, v15 offset:19456                        // 0000000075EC: D81A4C00 00000FFB
	v_rcp_f32_e32 v158, v182                                   // 0000000075F4: 7F3C45B6
	v_rcp_f32_e32 v160, v184                                   // 0000000075F8: 7F4045B8
	v_rcp_f32_e32 v162, v186                                   // 0000000075FC: 7F4445BA
	v_mov_b32_e32 v159, v158                                   // 000000007600: 7F3E039E
	v_mov_b32_e32 v161, v160                                   // 000000007604: 7F4203A0
	v_mov_b32_e32 v163, v162                                   // 000000007608: 7F4603A2
	v_pk_add_f32 v[124:125], v[124:125], v[100:101]            // 00000000760C: D3B2407C 1802C97C
	v_pk_add_f32 v[126:127], v[126:127], v[102:103]            // 000000007614: D3B2407E 1802CD7E
	v_pk_add_f32 v[128:129], v[128:129], v[104:105]            // 00000000761C: D3B24080 1802D180
	v_pk_add_f32 v[130:131], v[130:131], v[106:107]            // 000000007624: D3B24082 1802D582
	v_pk_add_f32 v[132:133], v[132:133], v[108:109]            // 00000000762C: D3B24084 1802D984
	v_pk_add_f32 v[134:135], v[134:135], v[110:111]            // 000000007634: D3B24086 1802DD86
	v_pk_add_f32 v[136:137], v[136:137], v[112:113]            // 00000000763C: D3B24088 1802E188
	v_pk_add_f32 v[138:139], v[138:139], v[114:115]            // 000000007644: D3B2408A 1802E58A
	v_pk_add_f32 v[140:141], v[140:141], v[116:117]            // 00000000764C: D3B2408C 1802E98C
	v_pk_add_f32 v[142:143], v[142:143], v[118:119]            // 000000007654: D3B2408E 1802ED8E
	v_pk_add_f32 v[144:145], v[144:145], v[120:121]            // 00000000765C: D3B24090 1802F190
	v_pk_add_f32 v[146:147], v[146:147], v[122:123]            // 000000007664: D3B24092 1802F592
	s_waitcnt lgkmcnt(0)                                       // 00000000766C: BF8CC07F
	s_barrier                                                  // 000000007670: BF8A0000
	ds_read_b128 v[4:7], v252 offset:8192                      // 000000007674: D9FE2000 040000FC
	ds_read_b128 v[8:11], v252 offset:9216                     // 00000000767C: D9FE2400 080000FC
	ds_read_b128 v[12:15], v252 offset:10240                   // 000000007684: D9FE2800 0C0000FC
	ds_read_b128 v[16:19], v252 offset:11264                   // 00000000768C: D9FE2C00 100000FC
	ds_read_b128 v[20:23], v252 offset:12288                   // 000000007694: D9FE3000 140000FC
	ds_read_b128 v[24:27], v252 offset:13312                   // 00000000769C: D9FE3400 180000FC
	ds_read_b128 v[28:31], v252 offset:14336                   // 0000000076A4: D9FE3800 1C0000FC
	ds_read_b128 v[32:35], v252 offset:15360                   // 0000000076AC: D9FE3C00 200000FC
	ds_read_b128 v[36:39], v252 offset:16384                   // 0000000076B4: D9FE4000 240000FC
	ds_read_b128 v[40:43], v252 offset:17408                   // 0000000076BC: D9FE4400 280000FC
	ds_read_b128 v[44:47], v252 offset:18432                   // 0000000076C4: D9FE4800 2C0000FC
	ds_read_b128 v[48:51], v252 offset:19456                   // 0000000076CC: D9FE4C00 300000FC
	s_waitcnt vmcnt(10)                                        // 0000000076D4: BF8C0F7A
	s_waitcnt lgkmcnt(11)                                      // 0000000076D8: BF8CCB7F
	v_mfma_f32_16x16x32_fp8_fp8 v[100:103], a[120:121], v[4:5], 0// 0000000076DC: D3F30064 0A020978
	v_mfma_f32_16x16x32_fp8_fp8 v[104:107], a[136:137], v[4:5], 0// 0000000076E4: D3F30068 0A020988
	v_mfma_f32_16x16x32_fp8_fp8 v[100:103], a[122:123], v[6:7], v[100:103]// 0000000076EC: D3F30064 0D920D7A
	buffer_load_dwordx4 a[88:91], v231, s[16:19], 0 offen      // 0000000076F4: E05C1000 808458E7
	v_mfma_f32_16x16x32_fp8_fp8 v[104:107], a[138:139], v[6:7], v[104:107]// 0000000076FC: D3F30068 0DA20D8A
	s_waitcnt lgkmcnt(10)                                      // 000000007704: BF8CCA7F
	v_mfma_f32_16x16x32_fp8_fp8 v[100:103], a[124:125], v[8:9], v[100:103]// 000000007708: D3F30064 0D92117C
	v_mfma_f32_16x16x32_fp8_fp8 v[104:107], a[140:141], v[8:9], v[104:107]// 000000007710: D3F30068 0DA2118C
	v_mfma_f32_16x16x32_fp8_fp8 v[100:103], a[126:127], v[10:11], v[100:103]// 000000007718: D3F30064 0D92157E
	buffer_load_dwordx4 a[92:95], v232, s[16:19], 0 offen      // 000000007720: E05C1000 80845CE8
	v_mfma_f32_16x16x32_fp8_fp8 v[104:107], a[142:143], v[10:11], v[104:107]// 000000007728: D3F30068 0DA2158E
	s_waitcnt lgkmcnt(9)                                       // 000000007730: BF8CC97F
	v_mfma_f32_16x16x32_fp8_fp8 v[100:103], a[128:129], v[12:13], v[100:103]// 000000007734: D3F30064 0D921980
	v_mfma_f32_16x16x32_fp8_fp8 v[104:107], a[144:145], v[12:13], v[104:107]// 00000000773C: D3F30068 0DA21990
	v_mfma_f32_16x16x32_fp8_fp8 v[100:103], a[130:131], v[14:15], v[100:103]// 000000007744: D3F30064 0D921D82
	buffer_load_dwordx4 a[96:99], v233, s[16:19], 0 offen      // 00000000774C: E05C1000 808460E9
	v_mfma_f32_16x16x32_fp8_fp8 v[104:107], a[146:147], v[14:15], v[104:107]// 000000007754: D3F30068 0DA21D92
	s_waitcnt lgkmcnt(8)                                       // 00000000775C: BF8CC87F
	v_mfma_f32_16x16x32_fp8_fp8 v[100:103], a[132:133], v[16:17], v[100:103]// 000000007760: D3F30064 0D922184
	v_mfma_f32_16x16x32_fp8_fp8 v[104:107], a[148:149], v[16:17], v[104:107]// 000000007768: D3F30068 0DA22194
	v_mfma_f32_16x16x32_fp8_fp8 v[100:103], a[134:135], v[18:19], v[100:103]// 000000007770: D3F30064 0D922586
	buffer_load_dwordx4 a[100:103], v234, s[16:19], 0 offen    // 000000007778: E05C1000 808464EA
	v_mfma_f32_16x16x32_fp8_fp8 v[104:107], a[150:151], v[18:19], v[104:107]// 000000007780: D3F30068 0DA22596
	s_waitcnt lgkmcnt(7)                                       // 000000007788: BF8CC77F
	v_mfma_f32_16x16x32_fp8_fp8 v[108:111], a[120:121], v[20:21], 0// 00000000778C: D3F3006C 0A022978
	v_mfma_f32_16x16x32_fp8_fp8 v[112:115], a[136:137], v[20:21], 0// 000000007794: D3F30070 0A022988
	v_mfma_f32_16x16x32_fp8_fp8 v[108:111], a[122:123], v[22:23], v[108:111]// 00000000779C: D3F3006C 0DB22D7A
	buffer_load_dwordx4 a[104:107], v231, s[16:19], 0 offen offset:1024// 0000000077A4: E05C1400 808468E7
	v_mfma_f32_16x16x32_fp8_fp8 v[112:115], a[138:139], v[22:23], v[112:115]// 0000000077AC: D3F30070 0DC22D8A
	s_waitcnt lgkmcnt(6)                                       // 0000000077B4: BF8CC67F
	v_mfma_f32_16x16x32_fp8_fp8 v[108:111], a[124:125], v[24:25], v[108:111]// 0000000077B8: D3F3006C 0DB2317C
	v_mfma_f32_16x16x32_fp8_fp8 v[112:115], a[140:141], v[24:25], v[112:115]// 0000000077C0: D3F30070 0DC2318C
	v_mfma_f32_16x16x32_fp8_fp8 v[108:111], a[126:127], v[26:27], v[108:111]// 0000000077C8: D3F3006C 0DB2357E
	buffer_load_dwordx4 a[108:111], v232, s[16:19], 0 offen offset:1024// 0000000077D0: E05C1400 80846CE8
	v_mfma_f32_16x16x32_fp8_fp8 v[112:115], a[142:143], v[26:27], v[112:115]// 0000000077D8: D3F30070 0DC2358E
	s_waitcnt lgkmcnt(5)                                       // 0000000077E0: BF8CC57F
	v_mfma_f32_16x16x32_fp8_fp8 v[108:111], a[128:129], v[28:29], v[108:111]// 0000000077E4: D3F3006C 0DB23980
	v_mfma_f32_16x16x32_fp8_fp8 v[112:115], a[144:145], v[28:29], v[112:115]// 0000000077EC: D3F30070 0DC23990
	v_mfma_f32_16x16x32_fp8_fp8 v[108:111], a[130:131], v[30:31], v[108:111]// 0000000077F4: D3F3006C 0DB23D82
	buffer_load_dwordx4 a[112:115], v233, s[16:19], 0 offen offset:1024// 0000000077FC: E05C1400 808470E9
	v_mfma_f32_16x16x32_fp8_fp8 v[112:115], a[146:147], v[30:31], v[112:115]// 000000007804: D3F30070 0DC23D92
	s_waitcnt lgkmcnt(4)                                       // 00000000780C: BF8CC47F
	v_mfma_f32_16x16x32_fp8_fp8 v[108:111], a[132:133], v[32:33], v[108:111]// 000000007810: D3F3006C 0DB24184
	v_mfma_f32_16x16x32_fp8_fp8 v[112:115], a[148:149], v[32:33], v[112:115]// 000000007818: D3F30070 0DC24194
	v_mfma_f32_16x16x32_fp8_fp8 v[108:111], a[134:135], v[34:35], v[108:111]// 000000007820: D3F3006C 0DB24586
	buffer_load_dwordx4 a[116:119], v234, s[16:19], 0 offen offset:1024// 000000007828: E05C1400 808474EA
	v_mfma_f32_16x16x32_fp8_fp8 v[112:115], a[150:151], v[34:35], v[112:115]// 000000007830: D3F30070 0DC24596
	s_waitcnt lgkmcnt(3)                                       // 000000007838: BF8CC37F
	v_mfma_f32_16x16x32_fp8_fp8 v[116:119], a[120:121], v[36:37], 0// 00000000783C: D3F30074 0A024978
	v_mfma_f32_16x16x32_fp8_fp8 v[120:123], a[136:137], v[36:37], 0// 000000007844: D3F30078 0A024988
	v_mfma_f32_16x16x32_fp8_fp8 v[116:119], a[122:123], v[38:39], v[116:119]// 00000000784C: D3F30074 0DD24D7A
	v_mfma_f32_16x16x32_fp8_fp8 v[120:123], a[138:139], v[38:39], v[120:123]// 000000007854: D3F30078 0DE24D8A
	s_waitcnt lgkmcnt(2)                                       // 00000000785C: BF8CC27F
	v_mfma_f32_16x16x32_fp8_fp8 v[116:119], a[124:125], v[40:41], v[116:119]// 000000007860: D3F30074 0DD2517C
	v_mfma_f32_16x16x32_fp8_fp8 v[120:123], a[140:141], v[40:41], v[120:123]// 000000007868: D3F30078 0DE2518C
	v_mfma_f32_16x16x32_fp8_fp8 v[116:119], a[126:127], v[42:43], v[116:119]// 000000007870: D3F30074 0DD2557E
	v_mfma_f32_16x16x32_fp8_fp8 v[120:123], a[142:143], v[42:43], v[120:123]// 000000007878: D3F30078 0DE2558E
	s_waitcnt lgkmcnt(1)                                       // 000000007880: BF8CC17F
	v_mfma_f32_16x16x32_fp8_fp8 v[116:119], a[128:129], v[44:45], v[116:119]// 000000007884: D3F30074 0DD25980
	v_mfma_f32_16x16x32_fp8_fp8 v[120:123], a[144:145], v[44:45], v[120:123]// 00000000788C: D3F30078 0DE25990
	v_mfma_f32_16x16x32_fp8_fp8 v[116:119], a[130:131], v[46:47], v[116:119]// 000000007894: D3F30074 0DD25D82
	v_mfma_f32_16x16x32_fp8_fp8 v[120:123], a[146:147], v[46:47], v[120:123]// 00000000789C: D3F30078 0DE25D92
	s_waitcnt lgkmcnt(0)                                       // 0000000078A4: BF8CC07F
	v_mfma_f32_16x16x32_fp8_fp8 v[116:119], a[132:133], v[48:49], v[116:119]// 0000000078A8: D3F30074 0DD26184
	v_mfma_f32_16x16x32_fp8_fp8 v[120:123], a[148:149], v[48:49], v[120:123]// 0000000078B0: D3F30078 0DE26194
	v_mfma_f32_16x16x32_fp8_fp8 v[116:119], a[134:135], v[50:51], v[116:119]// 0000000078B8: D3F30074 0DD26586
	v_mfma_f32_16x16x32_fp8_fp8 v[120:123], a[150:151], v[50:51], v[120:123]// 0000000078C0: D3F30078 0DE26596
	s_addk_i32 s64, 0x100                                      // 0000000078C8: B7400100
	s_branch label_0C60                                        // 0000000078CC: BF82F7AC

00000000000078d0 <label_14B4>:
	s_cmp_lt_i32 s64, s62                                      // 0000000078D0: BF043E40
	s_cbranch_scc0 label_2346                                  // 0000000078D4: BF840E90
	s_waitcnt vmcnt(10)                                        // 0000000078D8: BF8C0F7A
	s_lshl_b32 s68, s76, 2                                     // 0000000078DC: 8E44824C
	s_cmp_lt_u32 s76, s77                                      // 0000000078E0: BF0A4D4C
	s_cselect_b32 s68, s68, 0                                  // 0000000078E4: 85448044
	s_addk_i32 s76, 0x1                                        // 0000000078E8: B74C0001
	s_load_dword s59, s[42:43], s68                            // 0000000078EC: C0000ED5 00000044
	s_waitcnt lgkmcnt(0)                                       // 0000000078F4: BF8CC07F
	s_mul_i32 s69, s59, s50                                    // 0000000078F8: 9245323B
	s_mul_i32 s71, s59, s66                                    // 0000000078FC: 9247423B
	s_mul_i32 s54, s78, s51                                    // 000000007900: 9236334E
	s_add_u32 s69, s69, s54                                    // 000000007904: 80453645
	s_mov_b32 s70, s69                                         // 000000007908: BEC60045
	s_mul_i32 s54, s78, 4                                      // 00000000790C: 9236844E
	s_add_u32 s71, s71, s54                                    // 000000007910: 80473647
	s_add_u32 s12, s86, s69                                    // 000000007914: 800C4556
	s_addc_u32 s13, s87, 0                                     // 000000007918: 820D8057
	s_add_u32 s16, s88, s70                                    // 00000000791C: 80104658
	s_addc_u32 s17, s89, 0                                     // 000000007920: 82118059
	s_add_u32 s20, s90, s71                                    // 000000007924: 8014475A
	s_addc_u32 s21, s91, 0                                     // 000000007928: 8215805B
	s_add_u32 s24, s92, s71                                    // 00000000792C: 8018475C
	s_addc_u32 s25, s93, 0                                     // 000000007930: 8219805D
	v_mfma_f32_16x16x32_fp8_fp8 v[4:7], a[24:25], a[0:1], 0    // 000000007934: D3F30004 1A020118
	v_mfma_f32_16x16x32_fp8_fp8 v[4:7], a[26:27], a[2:3], v[4:7]// 00000000793C: D3F30004 1C12051A
	v_mfma_f32_16x16x32_fp8_fp8 v[4:7], a[28:29], a[4:5], v[4:7]// 000000007944: D3F30004 1C12091C
	buffer_load_dwordx4 a[56:59], v229, s[12:15], 0 offen      // 00000000794C: E05C1000 808338E5
	v_mfma_f32_16x16x32_fp8_fp8 v[4:7], a[30:31], a[6:7], v[4:7]// 000000007954: D3F30004 1C120D1E
	v_mfma_f32_16x16x32_fp8_fp8 v[8:11], a[32:33], a[0:1], 0   // 00000000795C: D3F30008 1A020120
	v_mfma_f32_16x16x32_fp8_fp8 v[8:11], a[34:35], a[2:3], v[8:11]// 000000007964: D3F30008 1C220522
	v_mfma_f32_16x16x32_fp8_fp8 v[8:11], a[36:37], a[4:5], v[8:11]// 00000000796C: D3F30008 1C220924
	buffer_load_dwordx4 a[60:63], v230, s[12:15], 0 offen      // 000000007974: E05C1000 80833CE6
	v_mfma_f32_16x16x32_fp8_fp8 v[8:11], a[38:39], a[6:7], v[8:11]// 00000000797C: D3F30008 1C220D26
	v_mfma_f32_16x16x32_fp8_fp8 v[12:15], a[40:41], a[0:1], 0  // 000000007984: D3F3000C 1A020128
	v_mfma_f32_16x16x32_fp8_fp8 v[12:15], a[42:43], a[2:3], v[12:15]// 00000000798C: D3F3000C 1C32052A
	v_mfma_f32_16x16x32_fp8_fp8 v[12:15], a[44:45], a[4:5], v[12:15]// 000000007994: D3F3000C 1C32092C
	buffer_load_dwordx4 a[64:67], v229, s[12:15], 0 offen offset:1024// 00000000799C: E05C1400 808340E5
	v_mfma_f32_16x16x32_fp8_fp8 v[12:15], a[46:47], a[6:7], v[12:15]// 0000000079A4: D3F3000C 1C320D2E
	v_mfma_f32_16x16x32_fp8_fp8 v[16:19], a[48:49], a[0:1], 0  // 0000000079AC: D3F30010 1A020130
	v_mfma_f32_16x16x32_fp8_fp8 v[16:19], a[50:51], a[2:3], v[16:19]// 0000000079B4: D3F30010 1C420532
	v_mfma_f32_16x16x32_fp8_fp8 v[16:19], a[52:53], a[4:5], v[16:19]// 0000000079BC: D3F30010 1C420934
	buffer_load_dwordx4 a[68:71], v230, s[12:15], 0 offen offset:1024// 0000000079C4: E05C1400 808344E6
	v_mfma_f32_16x16x32_fp8_fp8 v[16:19], a[54:55], a[6:7], v[16:19]// 0000000079CC: D3F30010 1C420D36
	v_mfma_f32_16x16x32_fp8_fp8 v[20:23], a[24:25], a[8:9], 0  // 0000000079D4: D3F30014 1A021118
	v_mfma_f32_16x16x32_fp8_fp8 v[20:23], a[26:27], a[10:11], v[20:23]// 0000000079DC: D3F30014 1C52151A
	v_mfma_f32_16x16x32_fp8_fp8 v[20:23], a[28:29], a[12:13], v[20:23]// 0000000079E4: D3F30014 1C52191C
	buffer_load_dwordx4 a[72:75], v229, s[12:15], 0 offen offset:2048// 0000000079EC: E05C1800 808348E5
	v_mfma_f32_16x16x32_fp8_fp8 v[20:23], a[30:31], a[14:15], v[20:23]// 0000000079F4: D3F30014 1C521D1E
	v_mfma_f32_16x16x32_fp8_fp8 v[24:27], a[32:33], a[8:9], 0  // 0000000079FC: D3F30018 1A021120
	v_mfma_f32_16x16x32_fp8_fp8 v[24:27], a[34:35], a[10:11], v[24:27]// 000000007A04: D3F30018 1C621522
	v_mfma_f32_16x16x32_fp8_fp8 v[24:27], a[36:37], a[12:13], v[24:27]// 000000007A0C: D3F30018 1C621924
	buffer_load_dwordx4 a[76:79], v230, s[12:15], 0 offen offset:2048// 000000007A14: E05C1800 80834CE6
	v_mfma_f32_16x16x32_fp8_fp8 v[24:27], a[38:39], a[14:15], v[24:27]// 000000007A1C: D3F30018 1C621D26
	v_mfma_f32_16x16x32_fp8_fp8 v[28:31], a[40:41], a[8:9], 0  // 000000007A24: D3F3001C 1A021128
	v_mfma_f32_16x16x32_fp8_fp8 v[28:31], a[42:43], a[10:11], v[28:31]// 000000007A2C: D3F3001C 1C72152A
	v_mfma_f32_16x16x32_fp8_fp8 v[28:31], a[44:45], a[12:13], v[28:31]// 000000007A34: D3F3001C 1C72192C
	buffer_load_dwordx4 a[80:83], v229, s[12:15], 0 offen offset:3072// 000000007A3C: E05C1C00 808350E5
	v_mfma_f32_16x16x32_fp8_fp8 v[28:31], a[46:47], a[14:15], v[28:31]// 000000007A44: D3F3001C 1C721D2E
	v_mfma_f32_16x16x32_fp8_fp8 v[32:35], a[48:49], a[8:9], 0  // 000000007A4C: D3F30020 1A021130
	v_mfma_f32_16x16x32_fp8_fp8 v[32:35], a[50:51], a[10:11], v[32:35]// 000000007A54: D3F30020 1C821532
	v_mfma_f32_16x16x32_fp8_fp8 v[32:35], a[52:53], a[12:13], v[32:35]// 000000007A5C: D3F30020 1C821934
	buffer_load_dwordx4 a[84:87], v230, s[12:15], 0 offen offset:3072// 000000007A64: E05C1C00 808354E6
	v_mfma_f32_16x16x32_fp8_fp8 v[32:35], a[54:55], a[14:15], v[32:35]// 000000007A6C: D3F30020 1C821D36
	v_mfma_f32_16x16x32_fp8_fp8 v[36:39], a[24:25], a[16:17], 0// 000000007A74: D3F30024 1A022118
	v_mfma_f32_16x16x32_fp8_fp8 v[36:39], a[26:27], a[18:19], v[36:39]// 000000007A7C: D3F30024 1C92251A
	v_mfma_f32_16x16x32_fp8_fp8 v[36:39], a[28:29], a[20:21], v[36:39]// 000000007A84: D3F30024 1C92291C
	v_mfma_f32_16x16x32_fp8_fp8 v[36:39], a[30:31], a[22:23], v[36:39]// 000000007A8C: D3F30024 1C922D1E
	v_mfma_f32_16x16x32_fp8_fp8 v[40:43], a[32:33], a[16:17], 0// 000000007A94: D3F30028 1A022120
	v_mfma_f32_16x16x32_fp8_fp8 v[40:43], a[34:35], a[18:19], v[40:43]// 000000007A9C: D3F30028 1CA22522
	v_mfma_f32_16x16x32_fp8_fp8 v[40:43], a[36:37], a[20:21], v[40:43]// 000000007AA4: D3F30028 1CA22924
	v_mfma_f32_16x16x32_fp8_fp8 v[40:43], a[38:39], a[22:23], v[40:43]// 000000007AAC: D3F30028 1CA22D26
	v_mfma_f32_16x16x32_fp8_fp8 v[44:47], a[40:41], a[16:17], 0// 000000007AB4: D3F3002C 1A022128
	v_mfma_f32_16x16x32_fp8_fp8 v[44:47], a[42:43], a[18:19], v[44:47]// 000000007ABC: D3F3002C 1CB2252A
	v_mfma_f32_16x16x32_fp8_fp8 v[44:47], a[44:45], a[20:21], v[44:47]// 000000007AC4: D3F3002C 1CB2292C
	v_mfma_f32_16x16x32_fp8_fp8 v[44:47], a[46:47], a[22:23], v[44:47]// 000000007ACC: D3F3002C 1CB22D2E
	v_mfma_f32_16x16x32_fp8_fp8 v[48:51], a[48:49], a[16:17], 0// 000000007AD4: D3F30030 1A022130
	v_mfma_f32_16x16x32_fp8_fp8 v[48:51], a[50:51], a[18:19], v[48:51]// 000000007ADC: D3F30030 1CC22532
	v_mfma_f32_16x16x32_fp8_fp8 v[48:51], a[52:53], a[20:21], v[48:51]// 000000007AE4: D3F30030 1CC22934
	v_mfma_f32_16x16x32_fp8_fp8 v[48:51], a[54:55], a[22:23], v[48:51]// 000000007AEC: D3F30030 1CC22D36
	s_waitcnt vmcnt(16)                                        // 000000007AF4: BF8C4F70
	v_pk_mul_f32 v[4:5], v[148:149], v[4:5]                    // 000000007AF8: D3B14004 18020994
	v_pk_mul_f32 v[6:7], v[148:149], v[6:7]                    // 000000007B00: D3B14006 18020D94
	v_mul_f32_dpp v4, v154, v4 row_newbcast:0 row_mask:0xf bank_mask:0xf// 000000007B08: 0A0808FA FF01509A
	v_mul_f32_dpp v5, v154, v5 row_newbcast:1 row_mask:0xf bank_mask:0xf// 000000007B10: 0A0A0AFA FF01519A
	v_mul_f32_dpp v6, v154, v6 row_newbcast:2 row_mask:0xf bank_mask:0xf// 000000007B18: 0A0C0CFA FF01529A
	v_mul_f32_dpp v7, v154, v7 row_newbcast:3 row_mask:0xf bank_mask:0xf// 000000007B20: 0A0E0EFA FF01539A
	v_pk_mul_f32 v[8:9], v[148:149], v[8:9]                    // 000000007B28: D3B14008 18021194
	v_pk_mul_f32 v[10:11], v[148:149], v[10:11]                // 000000007B30: D3B1400A 18021594
	v_mul_f32_dpp v8, v154, v8 row_newbcast:4 row_mask:0xf bank_mask:0xf// 000000007B38: 0A1010FA FF01549A
	v_mul_f32_dpp v9, v154, v9 row_newbcast:5 row_mask:0xf bank_mask:0xf// 000000007B40: 0A1212FA FF01559A
	v_mul_f32_dpp v10, v154, v10 row_newbcast:6 row_mask:0xf bank_mask:0xf// 000000007B48: 0A1414FA FF01569A
	v_mul_f32_dpp v11, v154, v11 row_newbcast:7 row_mask:0xf bank_mask:0xf// 000000007B50: 0A1616FA FF01579A
	v_pk_mul_f32 v[12:13], v[148:149], v[12:13]                // 000000007B58: D3B1400C 18021994
	v_pk_mul_f32 v[14:15], v[148:149], v[14:15]                // 000000007B60: D3B1400E 18021D94
	v_mul_f32_dpp v12, v154, v12 row_newbcast:8 row_mask:0xf bank_mask:0xf// 000000007B68: 0A1818FA FF01589A
	v_mul_f32_dpp v13, v154, v13 row_newbcast:9 row_mask:0xf bank_mask:0xf// 000000007B70: 0A1A1AFA FF01599A
	v_mul_f32_dpp v14, v154, v14 row_newbcast:10 row_mask:0xf bank_mask:0xf// 000000007B78: 0A1C1CFA FF015A9A
	v_mul_f32_dpp v15, v154, v15 row_newbcast:11 row_mask:0xf bank_mask:0xf// 000000007B80: 0A1E1EFA FF015B9A
	v_pk_mul_f32 v[16:17], v[148:149], v[16:17]                // 000000007B88: D3B14010 18022194
	v_pk_mul_f32 v[18:19], v[148:149], v[18:19]                // 000000007B90: D3B14012 18022594
	v_mul_f32_dpp v16, v154, v16 row_newbcast:12 row_mask:0xf bank_mask:0xf// 000000007B98: 0A2020FA FF015C9A
	v_mul_f32_dpp v17, v154, v17 row_newbcast:13 row_mask:0xf bank_mask:0xf// 000000007BA0: 0A2222FA FF015D9A
	v_mul_f32_dpp v18, v154, v18 row_newbcast:14 row_mask:0xf bank_mask:0xf// 000000007BA8: 0A2424FA FF015E9A
	v_mul_f32_dpp v19, v154, v19 row_newbcast:15 row_mask:0xf bank_mask:0xf// 000000007BB0: 0A2626FA FF015F9A
	v_pk_mul_f32 v[20:21], v[150:151], v[20:21]                // 000000007BB8: D3B14014 18022996
	v_pk_mul_f32 v[22:23], v[150:151], v[22:23]                // 000000007BC0: D3B14016 18022D96
	v_mul_f32_dpp v20, v154, v20 row_newbcast:0 row_mask:0xf bank_mask:0xf// 000000007BC8: 0A2828FA FF01509A
	v_mul_f32_dpp v21, v154, v21 row_newbcast:1 row_mask:0xf bank_mask:0xf// 000000007BD0: 0A2A2AFA FF01519A
	v_mul_f32_dpp v22, v154, v22 row_newbcast:2 row_mask:0xf bank_mask:0xf// 000000007BD8: 0A2C2CFA FF01529A
	v_mul_f32_dpp v23, v154, v23 row_newbcast:3 row_mask:0xf bank_mask:0xf// 000000007BE0: 0A2E2EFA FF01539A
	v_pk_mul_f32 v[24:25], v[150:151], v[24:25]                // 000000007BE8: D3B14018 18023196
	v_pk_mul_f32 v[26:27], v[150:151], v[26:27]                // 000000007BF0: D3B1401A 18023596
	v_mul_f32_dpp v24, v154, v24 row_newbcast:4 row_mask:0xf bank_mask:0xf// 000000007BF8: 0A3030FA FF01549A
	v_mul_f32_dpp v25, v154, v25 row_newbcast:5 row_mask:0xf bank_mask:0xf// 000000007C00: 0A3232FA FF01559A
	v_mul_f32_dpp v26, v154, v26 row_newbcast:6 row_mask:0xf bank_mask:0xf// 000000007C08: 0A3434FA FF01569A
	v_mul_f32_dpp v27, v154, v27 row_newbcast:7 row_mask:0xf bank_mask:0xf// 000000007C10: 0A3636FA FF01579A
	v_pk_mul_f32 v[28:29], v[150:151], v[28:29]                // 000000007C18: D3B1401C 18023996
	v_pk_mul_f32 v[30:31], v[150:151], v[30:31]                // 000000007C20: D3B1401E 18023D96
	v_mul_f32_dpp v28, v154, v28 row_newbcast:8 row_mask:0xf bank_mask:0xf// 000000007C28: 0A3838FA FF01589A
	v_mul_f32_dpp v29, v154, v29 row_newbcast:9 row_mask:0xf bank_mask:0xf// 000000007C30: 0A3A3AFA FF01599A
	v_mul_f32_dpp v30, v154, v30 row_newbcast:10 row_mask:0xf bank_mask:0xf// 000000007C38: 0A3C3CFA FF015A9A
	v_mul_f32_dpp v31, v154, v31 row_newbcast:11 row_mask:0xf bank_mask:0xf// 000000007C40: 0A3E3EFA FF015B9A
	v_pk_mul_f32 v[32:33], v[150:151], v[32:33]                // 000000007C48: D3B14020 18024196
	v_pk_mul_f32 v[34:35], v[150:151], v[34:35]                // 000000007C50: D3B14022 18024596
	v_mul_f32_dpp v32, v154, v32 row_newbcast:12 row_mask:0xf bank_mask:0xf// 000000007C58: 0A4040FA FF015C9A
	v_mul_f32_dpp v33, v154, v33 row_newbcast:13 row_mask:0xf bank_mask:0xf// 000000007C60: 0A4242FA FF015D9A
	v_mul_f32_dpp v34, v154, v34 row_newbcast:14 row_mask:0xf bank_mask:0xf// 000000007C68: 0A4444FA FF015E9A
	v_mul_f32_dpp v35, v154, v35 row_newbcast:15 row_mask:0xf bank_mask:0xf// 000000007C70: 0A4646FA FF015F9A
	v_pk_mul_f32 v[36:37], v[152:153], v[36:37]                // 000000007C78: D3B14024 18024998
	v_pk_mul_f32 v[38:39], v[152:153], v[38:39]                // 000000007C80: D3B14026 18024D98
	v_mul_f32_dpp v36, v154, v36 row_newbcast:0 row_mask:0xf bank_mask:0xf// 000000007C88: 0A4848FA FF01509A
	v_mul_f32_dpp v37, v154, v37 row_newbcast:1 row_mask:0xf bank_mask:0xf// 000000007C90: 0A4A4AFA FF01519A
	v_mul_f32_dpp v38, v154, v38 row_newbcast:2 row_mask:0xf bank_mask:0xf// 000000007C98: 0A4C4CFA FF01529A
	v_mul_f32_dpp v39, v154, v39 row_newbcast:3 row_mask:0xf bank_mask:0xf// 000000007CA0: 0A4E4EFA FF01539A
	v_pk_mul_f32 v[40:41], v[152:153], v[40:41]                // 000000007CA8: D3B14028 18025198
	v_pk_mul_f32 v[42:43], v[152:153], v[42:43]                // 000000007CB0: D3B1402A 18025598
	v_mul_f32_dpp v40, v154, v40 row_newbcast:4 row_mask:0xf bank_mask:0xf// 000000007CB8: 0A5050FA FF01549A
	v_mul_f32_dpp v41, v154, v41 row_newbcast:5 row_mask:0xf bank_mask:0xf// 000000007CC0: 0A5252FA FF01559A
	v_mul_f32_dpp v42, v154, v42 row_newbcast:6 row_mask:0xf bank_mask:0xf// 000000007CC8: 0A5454FA FF01569A
	v_mul_f32_dpp v43, v154, v43 row_newbcast:7 row_mask:0xf bank_mask:0xf// 000000007CD0: 0A5656FA FF01579A
	v_pk_mul_f32 v[44:45], v[152:153], v[44:45]                // 000000007CD8: D3B1402C 18025998
	v_pk_mul_f32 v[46:47], v[152:153], v[46:47]                // 000000007CE0: D3B1402E 18025D98
	v_mul_f32_dpp v44, v154, v44 row_newbcast:8 row_mask:0xf bank_mask:0xf// 000000007CE8: 0A5858FA FF01589A
	v_mul_f32_dpp v45, v154, v45 row_newbcast:9 row_mask:0xf bank_mask:0xf// 000000007CF0: 0A5A5AFA FF01599A
	v_mul_f32_dpp v46, v154, v46 row_newbcast:10 row_mask:0xf bank_mask:0xf// 000000007CF8: 0A5C5CFA FF015A9A
	v_mul_f32_dpp v47, v154, v47 row_newbcast:11 row_mask:0xf bank_mask:0xf// 000000007D00: 0A5E5EFA FF015B9A
	v_pk_mul_f32 v[48:49], v[152:153], v[48:49]                // 000000007D08: D3B14030 18026198
	v_pk_mul_f32 v[50:51], v[152:153], v[50:51]                // 000000007D10: D3B14032 18026598
	v_mul_f32_dpp v48, v154, v48 row_newbcast:12 row_mask:0xf bank_mask:0xf// 000000007D18: 0A6060FA FF015C9A
	v_mul_f32_dpp v49, v154, v49 row_newbcast:13 row_mask:0xf bank_mask:0xf// 000000007D20: 0A6262FA FF015D9A
	v_mul_f32_dpp v50, v154, v50 row_newbcast:14 row_mask:0xf bank_mask:0xf// 000000007D28: 0A6464FA FF015E9A
	v_mul_f32_dpp v51, v154, v51 row_newbcast:15 row_mask:0xf bank_mask:0xf// 000000007D30: 0A6666FA FF015F9A
	v_add_u32_e32 v204, s64, v221                              // 000000007D38: 6999BA40
	v_add_u32_e32 v205, 0, v204                                // 000000007D3C: 699B9880
	v_cmp_lt_u32_e64 s[98:99], v205, v218                      // 000000007D40: D0C90062 0003B5CD
	s_nop 0                                                    // 000000007D48: BF800000
	v_cndmask_b32_e64 v4, v222, v4, s[98:99]                   // 000000007D4C: D1000004 018A09DE
	v_add_u32_e32 v205, 1, v204                                // 000000007D54: 699B9881
	v_cmp_lt_u32_e64 s[98:99], v205, v218                      // 000000007D58: D0C90062 0003B5CD
	s_nop 0                                                    // 000000007D60: BF800000
	v_cndmask_b32_e64 v5, v222, v5, s[98:99]                   // 000000007D64: D1000005 018A0BDE
	v_add_u32_e32 v205, 2, v204                                // 000000007D6C: 699B9882
	v_cmp_lt_u32_e64 s[98:99], v205, v218                      // 000000007D70: D0C90062 0003B5CD
	s_nop 0                                                    // 000000007D78: BF800000
	v_cndmask_b32_e64 v6, v222, v6, s[98:99]                   // 000000007D7C: D1000006 018A0DDE
	v_add_u32_e32 v205, 3, v204                                // 000000007D84: 699B9883
	v_cmp_lt_u32_e64 s[98:99], v205, v218                      // 000000007D88: D0C90062 0003B5CD
	s_nop 0                                                    // 000000007D90: BF800000
	v_cndmask_b32_e64 v7, v222, v7, s[98:99]                   // 000000007D94: D1000007 018A0FDE
	v_add_u32_e32 v205, 64, v204                               // 000000007D9C: 699B98C0
	v_cmp_lt_u32_e64 s[98:99], v205, v218                      // 000000007DA0: D0C90062 0003B5CD
	s_nop 0                                                    // 000000007DA8: BF800000
	v_cndmask_b32_e64 v8, v222, v8, s[98:99]                   // 000000007DAC: D1000008 018A11DE
	v_add_u32_e32 v205, 0x41, v204                             // 000000007DB4: 699B98FF 00000041
	v_cmp_lt_u32_e64 s[98:99], v205, v218                      // 000000007DBC: D0C90062 0003B5CD
	s_nop 0                                                    // 000000007DC4: BF800000
	v_cndmask_b32_e64 v9, v222, v9, s[98:99]                   // 000000007DC8: D1000009 018A13DE
	v_add_u32_e32 v205, 0x42, v204                             // 000000007DD0: 699B98FF 00000042
	v_cmp_lt_u32_e64 s[98:99], v205, v218                      // 000000007DD8: D0C90062 0003B5CD
	s_nop 0                                                    // 000000007DE0: BF800000
	v_cndmask_b32_e64 v10, v222, v10, s[98:99]                 // 000000007DE4: D100000A 018A15DE
	v_add_u32_e32 v205, 0x43, v204                             // 000000007DEC: 699B98FF 00000043
	v_cmp_lt_u32_e64 s[98:99], v205, v218                      // 000000007DF4: D0C90062 0003B5CD
	s_nop 0                                                    // 000000007DFC: BF800000
	v_cndmask_b32_e64 v11, v222, v11, s[98:99]                 // 000000007E00: D100000B 018A17DE
	v_add_u32_e32 v205, 0x80, v204                             // 000000007E08: 699B98FF 00000080
	v_cmp_lt_u32_e64 s[98:99], v205, v218                      // 000000007E10: D0C90062 0003B5CD
	s_nop 0                                                    // 000000007E18: BF800000
	v_cndmask_b32_e64 v12, v222, v12, s[98:99]                 // 000000007E1C: D100000C 018A19DE
	v_add_u32_e32 v205, 0x81, v204                             // 000000007E24: 699B98FF 00000081
	v_cmp_lt_u32_e64 s[98:99], v205, v218                      // 000000007E2C: D0C90062 0003B5CD
	s_nop 0                                                    // 000000007E34: BF800000
	v_cndmask_b32_e64 v13, v222, v13, s[98:99]                 // 000000007E38: D100000D 018A1BDE
	v_add_u32_e32 v205, 0x82, v204                             // 000000007E40: 699B98FF 00000082
	v_cmp_lt_u32_e64 s[98:99], v205, v218                      // 000000007E48: D0C90062 0003B5CD
	s_nop 0                                                    // 000000007E50: BF800000
	v_cndmask_b32_e64 v14, v222, v14, s[98:99]                 // 000000007E54: D100000E 018A1DDE
	v_add_u32_e32 v205, 0x83, v204                             // 000000007E5C: 699B98FF 00000083
	v_cmp_lt_u32_e64 s[98:99], v205, v218                      // 000000007E64: D0C90062 0003B5CD
	s_nop 0                                                    // 000000007E6C: BF800000
	v_cndmask_b32_e64 v15, v222, v15, s[98:99]                 // 000000007E70: D100000F 018A1FDE
	v_add_u32_e32 v205, 0xc0, v204                             // 000000007E78: 699B98FF 000000C0
	v_cmp_lt_u32_e64 s[98:99], v205, v218                      // 000000007E80: D0C90062 0003B5CD
	s_nop 0                                                    // 000000007E88: BF800000
	v_cndmask_b32_e64 v16, v222, v16, s[98:99]                 // 000000007E8C: D1000010 018A21DE
	v_add_u32_e32 v205, 0xc1, v204                             // 000000007E94: 699B98FF 000000C1
	v_cmp_lt_u32_e64 s[98:99], v205, v218                      // 000000007E9C: D0C90062 0003B5CD
	s_nop 0                                                    // 000000007EA4: BF800000
	v_cndmask_b32_e64 v17, v222, v17, s[98:99]                 // 000000007EA8: D1000011 018A23DE
	v_add_u32_e32 v205, 0xc2, v204                             // 000000007EB0: 699B98FF 000000C2
	v_cmp_lt_u32_e64 s[98:99], v205, v218                      // 000000007EB8: D0C90062 0003B5CD
	s_nop 0                                                    // 000000007EC0: BF800000
	v_cndmask_b32_e64 v18, v222, v18, s[98:99]                 // 000000007EC4: D1000012 018A25DE
	v_add_u32_e32 v205, 0xc3, v204                             // 000000007ECC: 699B98FF 000000C3
	v_cmp_lt_u32_e64 s[98:99], v205, v218                      // 000000007ED4: D0C90062 0003B5CD
	s_nop 0                                                    // 000000007EDC: BF800000
	v_cndmask_b32_e64 v19, v222, v19, s[98:99]                 // 000000007EE0: D1000013 018A27DE
	v_add_u32_e32 v205, 0, v204                                // 000000007EE8: 699B9880
	v_cmp_lt_u32_e64 s[98:99], v205, v219                      // 000000007EEC: D0C90062 0003B7CD
	s_nop 0                                                    // 000000007EF4: BF800000
	v_cndmask_b32_e64 v20, v222, v20, s[98:99]                 // 000000007EF8: D1000014 018A29DE
	v_add_u32_e32 v205, 1, v204                                // 000000007F00: 699B9881
	v_cmp_lt_u32_e64 s[98:99], v205, v219                      // 000000007F04: D0C90062 0003B7CD
	s_nop 0                                                    // 000000007F0C: BF800000
	v_cndmask_b32_e64 v21, v222, v21, s[98:99]                 // 000000007F10: D1000015 018A2BDE
	v_add_u32_e32 v205, 2, v204                                // 000000007F18: 699B9882
	v_cmp_lt_u32_e64 s[98:99], v205, v219                      // 000000007F1C: D0C90062 0003B7CD
	s_nop 0                                                    // 000000007F24: BF800000
	v_cndmask_b32_e64 v22, v222, v22, s[98:99]                 // 000000007F28: D1000016 018A2DDE
	v_add_u32_e32 v205, 3, v204                                // 000000007F30: 699B9883
	v_cmp_lt_u32_e64 s[98:99], v205, v219                      // 000000007F34: D0C90062 0003B7CD
	s_nop 0                                                    // 000000007F3C: BF800000
	v_cndmask_b32_e64 v23, v222, v23, s[98:99]                 // 000000007F40: D1000017 018A2FDE
	v_add_u32_e32 v205, 64, v204                               // 000000007F48: 699B98C0
	v_cmp_lt_u32_e64 s[98:99], v205, v219                      // 000000007F4C: D0C90062 0003B7CD
	s_nop 0                                                    // 000000007F54: BF800000
	v_cndmask_b32_e64 v24, v222, v24, s[98:99]                 // 000000007F58: D1000018 018A31DE
	v_add_u32_e32 v205, 0x41, v204                             // 000000007F60: 699B98FF 00000041
	v_cmp_lt_u32_e64 s[98:99], v205, v219                      // 000000007F68: D0C90062 0003B7CD
	s_nop 0                                                    // 000000007F70: BF800000
	v_cndmask_b32_e64 v25, v222, v25, s[98:99]                 // 000000007F74: D1000019 018A33DE
	v_add_u32_e32 v205, 0x42, v204                             // 000000007F7C: 699B98FF 00000042
	v_cmp_lt_u32_e64 s[98:99], v205, v219                      // 000000007F84: D0C90062 0003B7CD
	s_nop 0                                                    // 000000007F8C: BF800000
	v_cndmask_b32_e64 v26, v222, v26, s[98:99]                 // 000000007F90: D100001A 018A35DE
	v_add_u32_e32 v205, 0x43, v204                             // 000000007F98: 699B98FF 00000043
	v_cmp_lt_u32_e64 s[98:99], v205, v219                      // 000000007FA0: D0C90062 0003B7CD
	s_nop 0                                                    // 000000007FA8: BF800000
	v_cndmask_b32_e64 v27, v222, v27, s[98:99]                 // 000000007FAC: D100001B 018A37DE
	v_add_u32_e32 v205, 0x80, v204                             // 000000007FB4: 699B98FF 00000080
	v_cmp_lt_u32_e64 s[98:99], v205, v219                      // 000000007FBC: D0C90062 0003B7CD
	s_nop 0                                                    // 000000007FC4: BF800000
	v_cndmask_b32_e64 v28, v222, v28, s[98:99]                 // 000000007FC8: D100001C 018A39DE
	v_add_u32_e32 v205, 0x81, v204                             // 000000007FD0: 699B98FF 00000081
	v_cmp_lt_u32_e64 s[98:99], v205, v219                      // 000000007FD8: D0C90062 0003B7CD
	s_nop 0                                                    // 000000007FE0: BF800000
	v_cndmask_b32_e64 v29, v222, v29, s[98:99]                 // 000000007FE4: D100001D 018A3BDE
	v_add_u32_e32 v205, 0x82, v204                             // 000000007FEC: 699B98FF 00000082
	v_cmp_lt_u32_e64 s[98:99], v205, v219                      // 000000007FF4: D0C90062 0003B7CD
	s_nop 0                                                    // 000000007FFC: BF800000
	v_cndmask_b32_e64 v30, v222, v30, s[98:99]                 // 000000008000: D100001E 018A3DDE
	v_add_u32_e32 v205, 0x83, v204                             // 000000008008: 699B98FF 00000083
	v_cmp_lt_u32_e64 s[98:99], v205, v219                      // 000000008010: D0C90062 0003B7CD
	s_nop 0                                                    // 000000008018: BF800000
	v_cndmask_b32_e64 v31, v222, v31, s[98:99]                 // 00000000801C: D100001F 018A3FDE
	v_add_u32_e32 v205, 0xc0, v204                             // 000000008024: 699B98FF 000000C0
	v_cmp_lt_u32_e64 s[98:99], v205, v219                      // 00000000802C: D0C90062 0003B7CD
	s_nop 0                                                    // 000000008034: BF800000
	v_cndmask_b32_e64 v32, v222, v32, s[98:99]                 // 000000008038: D1000020 018A41DE
	v_add_u32_e32 v205, 0xc1, v204                             // 000000008040: 699B98FF 000000C1
	v_cmp_lt_u32_e64 s[98:99], v205, v219                      // 000000008048: D0C90062 0003B7CD
	s_nop 0                                                    // 000000008050: BF800000
	v_cndmask_b32_e64 v33, v222, v33, s[98:99]                 // 000000008054: D1000021 018A43DE
	v_add_u32_e32 v205, 0xc2, v204                             // 00000000805C: 699B98FF 000000C2
	v_cmp_lt_u32_e64 s[98:99], v205, v219                      // 000000008064: D0C90062 0003B7CD
	s_nop 0                                                    // 00000000806C: BF800000
	v_cndmask_b32_e64 v34, v222, v34, s[98:99]                 // 000000008070: D1000022 018A45DE
	v_add_u32_e32 v205, 0xc3, v204                             // 000000008078: 699B98FF 000000C3
	v_cmp_lt_u32_e64 s[98:99], v205, v219                      // 000000008080: D0C90062 0003B7CD
	s_nop 0                                                    // 000000008088: BF800000
	v_cndmask_b32_e64 v35, v222, v35, s[98:99]                 // 00000000808C: D1000023 018A47DE
	v_add_u32_e32 v205, 0, v204                                // 000000008094: 699B9880
	v_cmp_lt_u32_e64 s[98:99], v205, v220                      // 000000008098: D0C90062 0003B9CD
	s_nop 0                                                    // 0000000080A0: BF800000
	v_cndmask_b32_e64 v36, v222, v36, s[98:99]                 // 0000000080A4: D1000024 018A49DE
	v_add_u32_e32 v205, 1, v204                                // 0000000080AC: 699B9881
	v_cmp_lt_u32_e64 s[98:99], v205, v220                      // 0000000080B0: D0C90062 0003B9CD
	s_nop 0                                                    // 0000000080B8: BF800000
	v_cndmask_b32_e64 v37, v222, v37, s[98:99]                 // 0000000080BC: D1000025 018A4BDE
	v_add_u32_e32 v205, 2, v204                                // 0000000080C4: 699B9882
	v_cmp_lt_u32_e64 s[98:99], v205, v220                      // 0000000080C8: D0C90062 0003B9CD
	s_nop 0                                                    // 0000000080D0: BF800000
	v_cndmask_b32_e64 v38, v222, v38, s[98:99]                 // 0000000080D4: D1000026 018A4DDE
	v_add_u32_e32 v205, 3, v204                                // 0000000080DC: 699B9883
	v_cmp_lt_u32_e64 s[98:99], v205, v220                      // 0000000080E0: D0C90062 0003B9CD
	s_nop 0                                                    // 0000000080E8: BF800000
	v_cndmask_b32_e64 v39, v222, v39, s[98:99]                 // 0000000080EC: D1000027 018A4FDE
	v_add_u32_e32 v205, 64, v204                               // 0000000080F4: 699B98C0
	v_cmp_lt_u32_e64 s[98:99], v205, v220                      // 0000000080F8: D0C90062 0003B9CD
	s_nop 0                                                    // 000000008100: BF800000
	v_cndmask_b32_e64 v40, v222, v40, s[98:99]                 // 000000008104: D1000028 018A51DE
	v_add_u32_e32 v205, 0x41, v204                             // 00000000810C: 699B98FF 00000041
	v_cmp_lt_u32_e64 s[98:99], v205, v220                      // 000000008114: D0C90062 0003B9CD
	s_nop 0                                                    // 00000000811C: BF800000
	v_cndmask_b32_e64 v41, v222, v41, s[98:99]                 // 000000008120: D1000029 018A53DE
	v_add_u32_e32 v205, 0x42, v204                             // 000000008128: 699B98FF 00000042
	v_cmp_lt_u32_e64 s[98:99], v205, v220                      // 000000008130: D0C90062 0003B9CD
	s_nop 0                                                    // 000000008138: BF800000
	v_cndmask_b32_e64 v42, v222, v42, s[98:99]                 // 00000000813C: D100002A 018A55DE
	v_add_u32_e32 v205, 0x43, v204                             // 000000008144: 699B98FF 00000043
	v_cmp_lt_u32_e64 s[98:99], v205, v220                      // 00000000814C: D0C90062 0003B9CD
	s_nop 0                                                    // 000000008154: BF800000
	v_cndmask_b32_e64 v43, v222, v43, s[98:99]                 // 000000008158: D100002B 018A57DE
	v_add_u32_e32 v205, 0x80, v204                             // 000000008160: 699B98FF 00000080
	v_cmp_lt_u32_e64 s[98:99], v205, v220                      // 000000008168: D0C90062 0003B9CD
	s_nop 0                                                    // 000000008170: BF800000
	v_cndmask_b32_e64 v44, v222, v44, s[98:99]                 // 000000008174: D100002C 018A59DE
	v_add_u32_e32 v205, 0x81, v204                             // 00000000817C: 699B98FF 00000081
	v_cmp_lt_u32_e64 s[98:99], v205, v220                      // 000000008184: D0C90062 0003B9CD
	s_nop 0                                                    // 00000000818C: BF800000
	v_cndmask_b32_e64 v45, v222, v45, s[98:99]                 // 000000008190: D100002D 018A5BDE
	v_add_u32_e32 v205, 0x82, v204                             // 000000008198: 699B98FF 00000082
	v_cmp_lt_u32_e64 s[98:99], v205, v220                      // 0000000081A0: D0C90062 0003B9CD
	s_nop 0                                                    // 0000000081A8: BF800000
	v_cndmask_b32_e64 v46, v222, v46, s[98:99]                 // 0000000081AC: D100002E 018A5DDE
	v_add_u32_e32 v205, 0x83, v204                             // 0000000081B4: 699B98FF 00000083
	v_cmp_lt_u32_e64 s[98:99], v205, v220                      // 0000000081BC: D0C90062 0003B9CD
	s_nop 0                                                    // 0000000081C4: BF800000
	v_cndmask_b32_e64 v47, v222, v47, s[98:99]                 // 0000000081C8: D100002F 018A5FDE
	v_add_u32_e32 v205, 0xc0, v204                             // 0000000081D0: 699B98FF 000000C0
	v_cmp_lt_u32_e64 s[98:99], v205, v220                      // 0000000081D8: D0C90062 0003B9CD
	s_nop 0                                                    // 0000000081E0: BF800000
	v_cndmask_b32_e64 v48, v222, v48, s[98:99]                 // 0000000081E4: D1000030 018A61DE
	v_add_u32_e32 v205, 0xc1, v204                             // 0000000081EC: 699B98FF 000000C1
	v_cmp_lt_u32_e64 s[98:99], v205, v220                      // 0000000081F4: D0C90062 0003B9CD
	s_nop 0                                                    // 0000000081FC: BF800000
	v_cndmask_b32_e64 v49, v222, v49, s[98:99]                 // 000000008200: D1000031 018A63DE
	v_add_u32_e32 v205, 0xc2, v204                             // 000000008208: 699B98FF 000000C2
	v_cmp_lt_u32_e64 s[98:99], v205, v220                      // 000000008210: D0C90062 0003B9CD
	s_nop 0                                                    // 000000008218: BF800000
	v_cndmask_b32_e64 v50, v222, v50, s[98:99]                 // 00000000821C: D1000032 018A65DE
	v_add_u32_e32 v205, 0xc3, v204                             // 000000008224: 699B98FF 000000C3
	v_cmp_lt_u32_e64 s[98:99], v205, v220                      // 00000000822C: D0C90062 0003B9CD
	s_nop 0                                                    // 000000008234: BF800000
	v_cndmask_b32_e64 v51, v222, v51, s[98:99]                 // 000000008238: D1000033 018A67DE
	v_mov_b32_e32 v182, v4                                     // 000000008240: 7F6C0304
	v_max3_f32 v182, v4, v5, v182                              // 000000008244: D1D300B6 06DA0B04
	v_max3_f32 v182, v6, v7, v182                              // 00000000824C: D1D300B6 06DA0F06
	v_max3_f32 v182, v8, v9, v182                              // 000000008254: D1D300B6 06DA1308
	v_max3_f32 v182, v10, v11, v182                            // 00000000825C: D1D300B6 06DA170A
	v_max3_f32 v182, v12, v13, v182                            // 000000008264: D1D300B6 06DA1B0C
	v_max3_f32 v182, v14, v15, v182                            // 00000000826C: D1D300B6 06DA1F0E
	v_max3_f32 v182, v16, v17, v182                            // 000000008274: D1D300B6 06DA2310
	v_max3_f32 v182, v18, v19, v182                            // 00000000827C: D1D300B6 06DA2712
	v_mov_b32_e32 v183, v20                                    // 000000008284: 7F6E0314
	v_max3_f32 v183, v20, v21, v183                            // 000000008288: D1D300B7 06DE2B14
	v_max3_f32 v183, v22, v23, v183                            // 000000008290: D1D300B7 06DE2F16
	v_max3_f32 v183, v24, v25, v183                            // 000000008298: D1D300B7 06DE3318
	v_max3_f32 v183, v26, v27, v183                            // 0000000082A0: D1D300B7 06DE371A
	v_max3_f32 v183, v28, v29, v183                            // 0000000082A8: D1D300B7 06DE3B1C
	v_max3_f32 v183, v30, v31, v183                            // 0000000082B0: D1D300B7 06DE3F1E
	v_max3_f32 v183, v32, v33, v183                            // 0000000082B8: D1D300B7 06DE4320
	v_max3_f32 v183, v34, v35, v183                            // 0000000082C0: D1D300B7 06DE4722
	v_mov_b32_e32 v184, v36                                    // 0000000082C8: 7F700324
	v_max3_f32 v184, v36, v37, v184                            // 0000000082CC: D1D300B8 06E24B24
	v_max3_f32 v184, v38, v39, v184                            // 0000000082D4: D1D300B8 06E24F26
	v_max3_f32 v184, v40, v41, v184                            // 0000000082DC: D1D300B8 06E25328
	v_max3_f32 v184, v42, v43, v184                            // 0000000082E4: D1D300B8 06E2572A
	v_max3_f32 v184, v44, v45, v184                            // 0000000082EC: D1D300B8 06E25B2C
	v_max3_f32 v184, v46, v47, v184                            // 0000000082F4: D1D300B8 06E25F2E
	v_max3_f32 v184, v48, v49, v184                            // 0000000082FC: D1D300B8 06E26330
	v_max3_f32 v184, v50, v51, v184                            // 000000008304: D1D300B8 06E26732
	ds_bpermute_b32 v188, v208, v182                           // 00000000830C: D87E0000 BC00B6D0
	ds_bpermute_b32 v189, v209, v182                           // 000000008314: D87E0000 BD00B6D1
	ds_bpermute_b32 v190, v210, v182                           // 00000000831C: D87E0000 BE00B6D2
	ds_bpermute_b32 v191, v208, v183                           // 000000008324: D87E0000 BF00B7D0
	ds_bpermute_b32 v192, v209, v183                           // 00000000832C: D87E0000 C000B7D1
	ds_bpermute_b32 v193, v210, v183                           // 000000008334: D87E0000 C100B7D2
	ds_bpermute_b32 v194, v208, v184                           // 00000000833C: D87E0000 C200B8D0
	ds_bpermute_b32 v195, v209, v184                           // 000000008344: D87E0000 C300B8D1
	ds_bpermute_b32 v196, v210, v184                           // 00000000834C: D87E0000 C400B8D2
	v_pk_mul_f32 v[124:125], v[170:171], v[124:125]            // 000000008354: D3B1407C 1802F9AA
	v_pk_mul_f32 v[126:127], v[170:171], v[126:127]            // 00000000835C: D3B1407E 1802FDAA
	v_pk_mul_f32 v[128:129], v[170:171], v[128:129]            // 000000008364: D3B14080 180301AA
	v_pk_mul_f32 v[130:131], v[170:171], v[130:131]            // 00000000836C: D3B14082 180305AA
	v_pk_mul_f32 v[132:133], v[172:173], v[132:133]            // 000000008374: D3B14084 180309AC
	v_pk_mul_f32 v[134:135], v[172:173], v[134:135]            // 00000000837C: D3B14086 18030DAC
	v_pk_mul_f32 v[136:137], v[172:173], v[136:137]            // 000000008384: D3B14088 180311AC
	v_pk_mul_f32 v[138:139], v[172:173], v[138:139]            // 00000000838C: D3B1408A 180315AC
	v_pk_mul_f32 v[140:141], v[174:175], v[140:141]            // 000000008394: D3B1408C 180319AE
	v_pk_mul_f32 v[142:143], v[174:175], v[142:143]            // 00000000839C: D3B1408E 18031DAE
	v_pk_mul_f32 v[144:145], v[174:175], v[144:145]            // 0000000083A4: D3B14090 180321AE
	v_pk_mul_f32 v[146:147], v[174:175], v[146:147]            // 0000000083AC: D3B14092 180325AE
	s_waitcnt lgkmcnt(6)                                       // 0000000083B4: BF8CC67F
	v_max3_f32 v182, v188, v189, v182                          // 0000000083B8: D1D300B6 06DB7BBC
	v_max_f32_e32 v182, v190, v182                             // 0000000083C0: 176D6DBE
	s_waitcnt lgkmcnt(3)                                       // 0000000083C4: BF8CC37F
	v_max3_f32 v183, v191, v192, v183                          // 0000000083C8: D1D300B7 06DF81BF
	v_max_f32_e32 v183, v193, v183                             // 0000000083D0: 176F6FC1
	s_waitcnt lgkmcnt(0)                                       // 0000000083D4: BF8CC07F
	v_max3_f32 v184, v194, v195, v184                          // 0000000083D8: D1D300B8 06E387C2
	v_max_f32_e32 v184, v196, v184                             // 0000000083E0: 177171C4
	ds_write_b128 v249, v[182:185]                             // 0000000083E4: D9BE0000 0000B6F9
	s_waitcnt lgkmcnt(0)                                       // 0000000083EC: BF8CC07F
	s_barrier                                                  // 0000000083F0: BF8A0000
	ds_read_b128 v[188:191], v250                              // 0000000083F4: D9FE0000 BC0000FA
	ds_read_b128 v[192:195], v250 offset:256                   // 0000000083FC: D9FE0100 C00000FA
	ds_read_b128 v[196:199], v250 offset:512                   // 000000008404: D9FE0200 C40000FA
	ds_read_b128 v[200:203], v250 offset:768                   // 00000000840C: D9FE0300 C80000FA
	v_pk_mul_f32 v[100:101], v[158:159], v[100:101]            // 000000008414: D3B14064 1802C99E
	v_pk_mul_f32 v[102:103], v[158:159], v[102:103]            // 00000000841C: D3B14066 1802CD9E
	v_pk_mul_f32 v[104:105], v[158:159], v[104:105]            // 000000008424: D3B14068 1802D19E
	v_pk_mul_f32 v[106:107], v[158:159], v[106:107]            // 00000000842C: D3B1406A 1802D59E
	v_pk_mul_f32 v[108:109], v[160:161], v[108:109]            // 000000008434: D3B1406C 1802D9A0
	v_pk_mul_f32 v[110:111], v[160:161], v[110:111]            // 00000000843C: D3B1406E 1802DDA0
	v_pk_mul_f32 v[112:113], v[160:161], v[112:113]            // 000000008444: D3B14070 1802E1A0
	v_pk_mul_f32 v[114:115], v[160:161], v[114:115]            // 00000000844C: D3B14072 1802E5A0
	v_pk_mul_f32 v[116:117], v[162:163], v[116:117]            // 000000008454: D3B14074 1802E9A2
	v_pk_mul_f32 v[118:119], v[162:163], v[118:119]            // 00000000845C: D3B14076 1802EDA2
	v_pk_mul_f32 v[120:121], v[162:163], v[120:121]            // 000000008464: D3B14078 1802F1A2
	v_pk_mul_f32 v[122:123], v[162:163], v[122:123]            // 00000000846C: D3B1407A 1802F5A2
	s_waitcnt lgkmcnt(0)                                       // 000000008474: BF8CC07F
	v_max3_f32 v182, v188, v192, v182                          // 000000008478: D1D300B6 06DB81BC
	v_max3_f32 v183, v189, v193, v183                          // 000000008480: D1D300B7 06DF83BD
	v_max3_f32 v184, v190, v194, v184                          // 000000008488: D1D300B8 06E385BE
	v_max3_f32 v182, v196, v200, v182                          // 000000008490: D1D300B6 06DB91C4
	v_max3_f32 v183, v197, v201, v183                          // 000000008498: D1D300B7 06DF93C5
	v_max3_f32 v184, v198, v202, v184                          // 0000000084A0: D1D300B8 06E395C6
	v_max_f32_e32 v167, v182, v164                             // 0000000084A8: 174F49B6
	v_mul_f32_e64 v204, -s46, v167                             // 0000000084AC: D10500CC 20034E2E
	v_mov_b32_e32 v205, v204                                   // 0000000084B4: 7F9A03CC
	v_pk_fma_f32 v[4:5], v[4:5], s[46:47], v[204:205]          // 0000000084B8: D3B04004 1F305D04
	v_pk_fma_f32 v[6:7], v[6:7], s[46:47], v[204:205]          // 0000000084C0: D3B04006 1F305D06
	v_exp_f32_e32 v4, v4                                       // 0000000084C8: 7E084104
	v_exp_f32_e32 v5, v5                                       // 0000000084CC: 7E0A4105
	v_exp_f32_e32 v6, v6                                       // 0000000084D0: 7E0C4106
	v_exp_f32_e32 v7, v7                                       // 0000000084D4: 7E0E4107
	v_pk_fma_f32 v[8:9], v[8:9], s[46:47], v[204:205]          // 0000000084D8: D3B04008 1F305D08
	v_pk_fma_f32 v[10:11], v[10:11], s[46:47], v[204:205]      // 0000000084E0: D3B0400A 1F305D0A
	v_exp_f32_e32 v8, v8                                       // 0000000084E8: 7E104108
	v_exp_f32_e32 v9, v9                                       // 0000000084EC: 7E124109
	v_exp_f32_e32 v10, v10                                     // 0000000084F0: 7E14410A
	v_exp_f32_e32 v11, v11                                     // 0000000084F4: 7E16410B
	v_pk_fma_f32 v[12:13], v[12:13], s[46:47], v[204:205]      // 0000000084F8: D3B0400C 1F305D0C
	v_pk_fma_f32 v[14:15], v[14:15], s[46:47], v[204:205]      // 000000008500: D3B0400E 1F305D0E
	v_exp_f32_e32 v12, v12                                     // 000000008508: 7E18410C
	v_exp_f32_e32 v13, v13                                     // 00000000850C: 7E1A410D
	v_exp_f32_e32 v14, v14                                     // 000000008510: 7E1C410E
	v_exp_f32_e32 v15, v15                                     // 000000008514: 7E1E410F
	v_pk_fma_f32 v[16:17], v[16:17], s[46:47], v[204:205]      // 000000008518: D3B04010 1F305D10
	v_pk_fma_f32 v[18:19], v[18:19], s[46:47], v[204:205]      // 000000008520: D3B04012 1F305D12
	v_exp_f32_e32 v16, v16                                     // 000000008528: 7E204110
	v_exp_f32_e32 v17, v17                                     // 00000000852C: 7E224111
	v_exp_f32_e32 v18, v18                                     // 000000008530: 7E244112
	v_exp_f32_e32 v19, v19                                     // 000000008534: 7E264113
	v_max_f32_e32 v168, v183, v165                             // 000000008538: 17514BB7
	v_mul_f32_e64 v204, -s46, v168                             // 00000000853C: D10500CC 2003502E
	v_mov_b32_e32 v205, v204                                   // 000000008544: 7F9A03CC
	v_pk_fma_f32 v[20:21], v[20:21], s[46:47], v[204:205]      // 000000008548: D3B04014 1F305D14
	v_pk_fma_f32 v[22:23], v[22:23], s[46:47], v[204:205]      // 000000008550: D3B04016 1F305D16
	v_exp_f32_e32 v20, v20                                     // 000000008558: 7E284114
	v_exp_f32_e32 v21, v21                                     // 00000000855C: 7E2A4115
	v_exp_f32_e32 v22, v22                                     // 000000008560: 7E2C4116
	v_exp_f32_e32 v23, v23                                     // 000000008564: 7E2E4117
	v_pk_fma_f32 v[24:25], v[24:25], s[46:47], v[204:205]      // 000000008568: D3B04018 1F305D18
	v_pk_fma_f32 v[26:27], v[26:27], s[46:47], v[204:205]      // 000000008570: D3B0401A 1F305D1A
	v_exp_f32_e32 v24, v24                                     // 000000008578: 7E304118
	v_exp_f32_e32 v25, v25                                     // 00000000857C: 7E324119
	v_exp_f32_e32 v26, v26                                     // 000000008580: 7E34411A
	v_exp_f32_e32 v27, v27                                     // 000000008584: 7E36411B
	v_pk_fma_f32 v[28:29], v[28:29], s[46:47], v[204:205]      // 000000008588: D3B0401C 1F305D1C
	v_pk_fma_f32 v[30:31], v[30:31], s[46:47], v[204:205]      // 000000008590: D3B0401E 1F305D1E
	v_exp_f32_e32 v28, v28                                     // 000000008598: 7E38411C
	v_exp_f32_e32 v29, v29                                     // 00000000859C: 7E3A411D
	v_exp_f32_e32 v30, v30                                     // 0000000085A0: 7E3C411E
	v_exp_f32_e32 v31, v31                                     // 0000000085A4: 7E3E411F
	v_pk_fma_f32 v[32:33], v[32:33], s[46:47], v[204:205]      // 0000000085A8: D3B04020 1F305D20
	v_pk_fma_f32 v[34:35], v[34:35], s[46:47], v[204:205]      // 0000000085B0: D3B04022 1F305D22
	v_exp_f32_e32 v32, v32                                     // 0000000085B8: 7E404120
	v_exp_f32_e32 v33, v33                                     // 0000000085BC: 7E424121
	v_exp_f32_e32 v34, v34                                     // 0000000085C0: 7E444122
	v_exp_f32_e32 v35, v35                                     // 0000000085C4: 7E464123
	v_max_f32_e32 v169, v184, v166                             // 0000000085C8: 17534DB8
	v_mul_f32_e64 v204, -s46, v169                             // 0000000085CC: D10500CC 2003522E
	v_mov_b32_e32 v205, v204                                   // 0000000085D4: 7F9A03CC
	v_pk_fma_f32 v[36:37], v[36:37], s[46:47], v[204:205]      // 0000000085D8: D3B04024 1F305D24
	v_pk_fma_f32 v[38:39], v[38:39], s[46:47], v[204:205]      // 0000000085E0: D3B04026 1F305D26
	v_exp_f32_e32 v36, v36                                     // 0000000085E8: 7E484124
	v_exp_f32_e32 v37, v37                                     // 0000000085EC: 7E4A4125
	v_exp_f32_e32 v38, v38                                     // 0000000085F0: 7E4C4126
	v_exp_f32_e32 v39, v39                                     // 0000000085F4: 7E4E4127
	v_pk_fma_f32 v[40:41], v[40:41], s[46:47], v[204:205]      // 0000000085F8: D3B04028 1F305D28
	v_pk_fma_f32 v[42:43], v[42:43], s[46:47], v[204:205]      // 000000008600: D3B0402A 1F305D2A
	v_exp_f32_e32 v40, v40                                     // 000000008608: 7E504128
	v_exp_f32_e32 v41, v41                                     // 00000000860C: 7E524129
	v_exp_f32_e32 v42, v42                                     // 000000008610: 7E54412A
	v_exp_f32_e32 v43, v43                                     // 000000008614: 7E56412B
	v_pk_fma_f32 v[44:45], v[44:45], s[46:47], v[204:205]      // 000000008618: D3B0402C 1F305D2C
	v_pk_fma_f32 v[46:47], v[46:47], s[46:47], v[204:205]      // 000000008620: D3B0402E 1F305D2E
	v_exp_f32_e32 v44, v44                                     // 000000008628: 7E58412C
	v_exp_f32_e32 v45, v45                                     // 00000000862C: 7E5A412D
	v_exp_f32_e32 v46, v46                                     // 000000008630: 7E5C412E
	v_exp_f32_e32 v47, v47                                     // 000000008634: 7E5E412F
	v_pk_fma_f32 v[48:49], v[48:49], s[46:47], v[204:205]      // 000000008638: D3B04030 1F305D30
	v_pk_fma_f32 v[50:51], v[50:51], s[46:47], v[204:205]      // 000000008640: D3B04032 1F305D32
	v_exp_f32_e32 v48, v48                                     // 000000008648: 7E604130
	v_exp_f32_e32 v49, v49                                     // 00000000864C: 7E624131
	v_exp_f32_e32 v50, v50                                     // 000000008650: 7E644132
	v_exp_f32_e32 v51, v51                                     // 000000008654: 7E664133
	v_mul_f32_dpp v52, v156, v4 row_newbcast:0 row_mask:0xf bank_mask:0xf// 000000008658: 0A6808FA FF01509C
	v_mul_f32_dpp v53, v156, v5 row_newbcast:1 row_mask:0xf bank_mask:0xf// 000000008660: 0A6A0AFA FF01519C
	v_mul_f32_dpp v54, v156, v6 row_newbcast:2 row_mask:0xf bank_mask:0xf// 000000008668: 0A6C0CFA FF01529C
	v_mul_f32_dpp v55, v156, v7 row_newbcast:3 row_mask:0xf bank_mask:0xf// 000000008670: 0A6E0EFA FF01539C
	v_mul_f32_dpp v56, v156, v8 row_newbcast:4 row_mask:0xf bank_mask:0xf// 000000008678: 0A7010FA FF01549C
	v_mul_f32_dpp v57, v156, v9 row_newbcast:5 row_mask:0xf bank_mask:0xf// 000000008680: 0A7212FA FF01559C
	v_mul_f32_dpp v58, v156, v10 row_newbcast:6 row_mask:0xf bank_mask:0xf// 000000008688: 0A7414FA FF01569C
	v_mul_f32_dpp v59, v156, v11 row_newbcast:7 row_mask:0xf bank_mask:0xf// 000000008690: 0A7616FA FF01579C
	v_mul_f32_dpp v60, v156, v12 row_newbcast:8 row_mask:0xf bank_mask:0xf// 000000008698: 0A7818FA FF01589C
	v_mul_f32_dpp v61, v156, v13 row_newbcast:9 row_mask:0xf bank_mask:0xf// 0000000086A0: 0A7A1AFA FF01599C
	v_mul_f32_dpp v62, v156, v14 row_newbcast:10 row_mask:0xf bank_mask:0xf// 0000000086A8: 0A7C1CFA FF015A9C
	v_mul_f32_dpp v63, v156, v15 row_newbcast:11 row_mask:0xf bank_mask:0xf// 0000000086B0: 0A7E1EFA FF015B9C
	v_mul_f32_dpp v64, v156, v16 row_newbcast:12 row_mask:0xf bank_mask:0xf// 0000000086B8: 0A8020FA FF015C9C
	v_mul_f32_dpp v65, v156, v17 row_newbcast:13 row_mask:0xf bank_mask:0xf// 0000000086C0: 0A8222FA FF015D9C
	v_mul_f32_dpp v66, v156, v18 row_newbcast:14 row_mask:0xf bank_mask:0xf// 0000000086C8: 0A8424FA FF015E9C
	v_mul_f32_dpp v67, v156, v19 row_newbcast:15 row_mask:0xf bank_mask:0xf// 0000000086D0: 0A8626FA FF015F9C
	v_mul_f32_dpp v68, v156, v20 row_newbcast:0 row_mask:0xf bank_mask:0xf// 0000000086D8: 0A8828FA FF01509C
	v_mul_f32_dpp v69, v156, v21 row_newbcast:1 row_mask:0xf bank_mask:0xf// 0000000086E0: 0A8A2AFA FF01519C
	v_mul_f32_dpp v70, v156, v22 row_newbcast:2 row_mask:0xf bank_mask:0xf// 0000000086E8: 0A8C2CFA FF01529C
	v_mul_f32_dpp v71, v156, v23 row_newbcast:3 row_mask:0xf bank_mask:0xf// 0000000086F0: 0A8E2EFA FF01539C
	v_mul_f32_dpp v72, v156, v24 row_newbcast:4 row_mask:0xf bank_mask:0xf// 0000000086F8: 0A9030FA FF01549C
	v_mul_f32_dpp v73, v156, v25 row_newbcast:5 row_mask:0xf bank_mask:0xf// 000000008700: 0A9232FA FF01559C
	v_mul_f32_dpp v74, v156, v26 row_newbcast:6 row_mask:0xf bank_mask:0xf// 000000008708: 0A9434FA FF01569C
	v_mul_f32_dpp v75, v156, v27 row_newbcast:7 row_mask:0xf bank_mask:0xf// 000000008710: 0A9636FA FF01579C
	v_mul_f32_dpp v76, v156, v28 row_newbcast:8 row_mask:0xf bank_mask:0xf// 000000008718: 0A9838FA FF01589C
	v_mul_f32_dpp v77, v156, v29 row_newbcast:9 row_mask:0xf bank_mask:0xf// 000000008720: 0A9A3AFA FF01599C
	v_mul_f32_dpp v78, v156, v30 row_newbcast:10 row_mask:0xf bank_mask:0xf// 000000008728: 0A9C3CFA FF015A9C
	v_mul_f32_dpp v79, v156, v31 row_newbcast:11 row_mask:0xf bank_mask:0xf// 000000008730: 0A9E3EFA FF015B9C
	v_mul_f32_dpp v80, v156, v32 row_newbcast:12 row_mask:0xf bank_mask:0xf// 000000008738: 0AA040FA FF015C9C
	v_mul_f32_dpp v81, v156, v33 row_newbcast:13 row_mask:0xf bank_mask:0xf// 000000008740: 0AA242FA FF015D9C
	v_mul_f32_dpp v82, v156, v34 row_newbcast:14 row_mask:0xf bank_mask:0xf// 000000008748: 0AA444FA FF015E9C
	v_mul_f32_dpp v83, v156, v35 row_newbcast:15 row_mask:0xf bank_mask:0xf// 000000008750: 0AA646FA FF015F9C
	v_mul_f32_dpp v84, v156, v36 row_newbcast:0 row_mask:0xf bank_mask:0xf// 000000008758: 0AA848FA FF01509C
	v_mul_f32_dpp v85, v156, v37 row_newbcast:1 row_mask:0xf bank_mask:0xf// 000000008760: 0AAA4AFA FF01519C
	v_mul_f32_dpp v86, v156, v38 row_newbcast:2 row_mask:0xf bank_mask:0xf// 000000008768: 0AAC4CFA FF01529C
	v_mul_f32_dpp v87, v156, v39 row_newbcast:3 row_mask:0xf bank_mask:0xf// 000000008770: 0AAE4EFA FF01539C
	v_mul_f32_dpp v88, v156, v40 row_newbcast:4 row_mask:0xf bank_mask:0xf// 000000008778: 0AB050FA FF01549C
	v_mul_f32_dpp v89, v156, v41 row_newbcast:5 row_mask:0xf bank_mask:0xf// 000000008780: 0AB252FA FF01559C
	v_mul_f32_dpp v90, v156, v42 row_newbcast:6 row_mask:0xf bank_mask:0xf// 000000008788: 0AB454FA FF01569C
	v_mul_f32_dpp v91, v156, v43 row_newbcast:7 row_mask:0xf bank_mask:0xf// 000000008790: 0AB656FA FF01579C
	v_mul_f32_dpp v92, v156, v44 row_newbcast:8 row_mask:0xf bank_mask:0xf// 000000008798: 0AB858FA FF01589C
	v_mul_f32_dpp v93, v156, v45 row_newbcast:9 row_mask:0xf bank_mask:0xf// 0000000087A0: 0ABA5AFA FF01599C
	v_mul_f32_dpp v94, v156, v46 row_newbcast:10 row_mask:0xf bank_mask:0xf// 0000000087A8: 0ABC5CFA FF015A9C
	v_mul_f32_dpp v95, v156, v47 row_newbcast:11 row_mask:0xf bank_mask:0xf// 0000000087B0: 0ABE5EFA FF015B9C
	v_mul_f32_dpp v96, v156, v48 row_newbcast:12 row_mask:0xf bank_mask:0xf// 0000000087B8: 0AC060FA FF015C9C
	v_mul_f32_dpp v97, v156, v49 row_newbcast:13 row_mask:0xf bank_mask:0xf// 0000000087C0: 0AC262FA FF015D9C
	v_mul_f32_dpp v98, v156, v50 row_newbcast:14 row_mask:0xf bank_mask:0xf// 0000000087C8: 0AC464FA FF015E9C
	v_mul_f32_dpp v99, v156, v51 row_newbcast:15 row_mask:0xf bank_mask:0xf// 0000000087D0: 0AC666FA FF015F9C
	v_add_u32_e32 v204, s64, v221                              // 0000000087D8: 6999BA40
	v_add_u32_e32 v205, 0, v204                                // 0000000087DC: 699B9880
	v_cmp_lt_u32_e32 vcc, v205, v218                           // 0000000087E0: 7D93B5CD
	v_cndmask_b32_e32 v52, 0, v52, vcc                         // 0000000087E4: 00686880
	v_cmp_lt_u32_e32 vcc, v205, v219                           // 0000000087E8: 7D93B7CD
	v_cndmask_b32_e32 v68, 0, v68, vcc                         // 0000000087EC: 00888880
	v_cmp_lt_u32_e32 vcc, v205, v220                           // 0000000087F0: 7D93B9CD
	v_cndmask_b32_e32 v84, 0, v84, vcc                         // 0000000087F4: 00A8A880
	v_add_u32_e32 v205, 1, v204                                // 0000000087F8: 699B9881
	v_cmp_lt_u32_e32 vcc, v205, v218                           // 0000000087FC: 7D93B5CD
	v_cndmask_b32_e32 v53, 0, v53, vcc                         // 000000008800: 006A6A80
	v_cmp_lt_u32_e32 vcc, v205, v219                           // 000000008804: 7D93B7CD
	v_cndmask_b32_e32 v69, 0, v69, vcc                         // 000000008808: 008A8A80
	v_cmp_lt_u32_e32 vcc, v205, v220                           // 00000000880C: 7D93B9CD
	v_cndmask_b32_e32 v85, 0, v85, vcc                         // 000000008810: 00AAAA80
	v_add_u32_e32 v205, 2, v204                                // 000000008814: 699B9882
	v_cmp_lt_u32_e32 vcc, v205, v218                           // 000000008818: 7D93B5CD
	v_cndmask_b32_e32 v54, 0, v54, vcc                         // 00000000881C: 006C6C80
	v_cmp_lt_u32_e32 vcc, v205, v219                           // 000000008820: 7D93B7CD
	v_cndmask_b32_e32 v70, 0, v70, vcc                         // 000000008824: 008C8C80
	v_cmp_lt_u32_e32 vcc, v205, v220                           // 000000008828: 7D93B9CD
	v_cndmask_b32_e32 v86, 0, v86, vcc                         // 00000000882C: 00ACAC80
	v_add_u32_e32 v205, 3, v204                                // 000000008830: 699B9883
	v_cmp_lt_u32_e32 vcc, v205, v218                           // 000000008834: 7D93B5CD
	v_cndmask_b32_e32 v55, 0, v55, vcc                         // 000000008838: 006E6E80
	v_cmp_lt_u32_e32 vcc, v205, v219                           // 00000000883C: 7D93B7CD
	v_cndmask_b32_e32 v71, 0, v71, vcc                         // 000000008840: 008E8E80
	v_cmp_lt_u32_e32 vcc, v205, v220                           // 000000008844: 7D93B9CD
	v_cndmask_b32_e32 v87, 0, v87, vcc                         // 000000008848: 00AEAE80
	v_add_u32_e32 v205, 64, v204                               // 00000000884C: 699B98C0
	v_cmp_lt_u32_e32 vcc, v205, v218                           // 000000008850: 7D93B5CD
	v_cndmask_b32_e32 v56, 0, v56, vcc                         // 000000008854: 00707080
	v_cmp_lt_u32_e32 vcc, v205, v219                           // 000000008858: 7D93B7CD
	v_cndmask_b32_e32 v72, 0, v72, vcc                         // 00000000885C: 00909080
	v_cmp_lt_u32_e32 vcc, v205, v220                           // 000000008860: 7D93B9CD
	v_cndmask_b32_e32 v88, 0, v88, vcc                         // 000000008864: 00B0B080
	v_add_u32_e32 v205, 0x41, v204                             // 000000008868: 699B98FF 00000041
	v_cmp_lt_u32_e32 vcc, v205, v218                           // 000000008870: 7D93B5CD
	v_cndmask_b32_e32 v57, 0, v57, vcc                         // 000000008874: 00727280
	v_cmp_lt_u32_e32 vcc, v205, v219                           // 000000008878: 7D93B7CD
	v_cndmask_b32_e32 v73, 0, v73, vcc                         // 00000000887C: 00929280
	v_cmp_lt_u32_e32 vcc, v205, v220                           // 000000008880: 7D93B9CD
	v_cndmask_b32_e32 v89, 0, v89, vcc                         // 000000008884: 00B2B280
	v_add_u32_e32 v205, 0x42, v204                             // 000000008888: 699B98FF 00000042
	v_cmp_lt_u32_e32 vcc, v205, v218                           // 000000008890: 7D93B5CD
	v_cndmask_b32_e32 v58, 0, v58, vcc                         // 000000008894: 00747480
	v_cmp_lt_u32_e32 vcc, v205, v219                           // 000000008898: 7D93B7CD
	v_cndmask_b32_e32 v74, 0, v74, vcc                         // 00000000889C: 00949480
	v_cmp_lt_u32_e32 vcc, v205, v220                           // 0000000088A0: 7D93B9CD
	v_cndmask_b32_e32 v90, 0, v90, vcc                         // 0000000088A4: 00B4B480
	v_add_u32_e32 v205, 0x43, v204                             // 0000000088A8: 699B98FF 00000043
	v_cmp_lt_u32_e32 vcc, v205, v218                           // 0000000088B0: 7D93B5CD
	v_cndmask_b32_e32 v59, 0, v59, vcc                         // 0000000088B4: 00767680
	v_cmp_lt_u32_e32 vcc, v205, v219                           // 0000000088B8: 7D93B7CD
	v_cndmask_b32_e32 v75, 0, v75, vcc                         // 0000000088BC: 00969680
	v_cmp_lt_u32_e32 vcc, v205, v220                           // 0000000088C0: 7D93B9CD
	v_cndmask_b32_e32 v91, 0, v91, vcc                         // 0000000088C4: 00B6B680
	v_add_u32_e32 v205, 0x80, v204                             // 0000000088C8: 699B98FF 00000080
	v_cmp_lt_u32_e32 vcc, v205, v218                           // 0000000088D0: 7D93B5CD
	v_cndmask_b32_e32 v60, 0, v60, vcc                         // 0000000088D4: 00787880
	v_cmp_lt_u32_e32 vcc, v205, v219                           // 0000000088D8: 7D93B7CD
	v_cndmask_b32_e32 v76, 0, v76, vcc                         // 0000000088DC: 00989880
	v_cmp_lt_u32_e32 vcc, v205, v220                           // 0000000088E0: 7D93B9CD
	v_cndmask_b32_e32 v92, 0, v92, vcc                         // 0000000088E4: 00B8B880
	v_add_u32_e32 v205, 0x81, v204                             // 0000000088E8: 699B98FF 00000081
	v_cmp_lt_u32_e32 vcc, v205, v218                           // 0000000088F0: 7D93B5CD
	v_cndmask_b32_e32 v61, 0, v61, vcc                         // 0000000088F4: 007A7A80
	v_cmp_lt_u32_e32 vcc, v205, v219                           // 0000000088F8: 7D93B7CD
	v_cndmask_b32_e32 v77, 0, v77, vcc                         // 0000000088FC: 009A9A80
	v_cmp_lt_u32_e32 vcc, v205, v220                           // 000000008900: 7D93B9CD
	v_cndmask_b32_e32 v93, 0, v93, vcc                         // 000000008904: 00BABA80
	v_add_u32_e32 v205, 0x82, v204                             // 000000008908: 699B98FF 00000082
	v_cmp_lt_u32_e32 vcc, v205, v218                           // 000000008910: 7D93B5CD
	v_cndmask_b32_e32 v62, 0, v62, vcc                         // 000000008914: 007C7C80
	v_cmp_lt_u32_e32 vcc, v205, v219                           // 000000008918: 7D93B7CD
	v_cndmask_b32_e32 v78, 0, v78, vcc                         // 00000000891C: 009C9C80
	v_cmp_lt_u32_e32 vcc, v205, v220                           // 000000008920: 7D93B9CD
	v_cndmask_b32_e32 v94, 0, v94, vcc                         // 000000008924: 00BCBC80
	v_add_u32_e32 v205, 0x83, v204                             // 000000008928: 699B98FF 00000083
	v_cmp_lt_u32_e32 vcc, v205, v218                           // 000000008930: 7D93B5CD
	v_cndmask_b32_e32 v63, 0, v63, vcc                         // 000000008934: 007E7E80
	v_cmp_lt_u32_e32 vcc, v205, v219                           // 000000008938: 7D93B7CD
	v_cndmask_b32_e32 v79, 0, v79, vcc                         // 00000000893C: 009E9E80
	v_cmp_lt_u32_e32 vcc, v205, v220                           // 000000008940: 7D93B9CD
	v_cndmask_b32_e32 v95, 0, v95, vcc                         // 000000008944: 00BEBE80
	v_add_u32_e32 v205, 0xc0, v204                             // 000000008948: 699B98FF 000000C0
	v_cmp_lt_u32_e32 vcc, v205, v218                           // 000000008950: 7D93B5CD
	v_cndmask_b32_e32 v64, 0, v64, vcc                         // 000000008954: 00808080
	v_cmp_lt_u32_e32 vcc, v205, v219                           // 000000008958: 7D93B7CD
	v_cndmask_b32_e32 v80, 0, v80, vcc                         // 00000000895C: 00A0A080
	v_cmp_lt_u32_e32 vcc, v205, v220                           // 000000008960: 7D93B9CD
	v_cndmask_b32_e32 v96, 0, v96, vcc                         // 000000008964: 00C0C080
	v_add_u32_e32 v205, 0xc1, v204                             // 000000008968: 699B98FF 000000C1
	v_cmp_lt_u32_e32 vcc, v205, v218                           // 000000008970: 7D93B5CD
	v_cndmask_b32_e32 v65, 0, v65, vcc                         // 000000008974: 00828280
	v_cmp_lt_u32_e32 vcc, v205, v219                           // 000000008978: 7D93B7CD
	v_cndmask_b32_e32 v81, 0, v81, vcc                         // 00000000897C: 00A2A280
	v_cmp_lt_u32_e32 vcc, v205, v220                           // 000000008980: 7D93B9CD
	v_cndmask_b32_e32 v97, 0, v97, vcc                         // 000000008984: 00C2C280
	v_add_u32_e32 v205, 0xc2, v204                             // 000000008988: 699B98FF 000000C2
	v_cmp_lt_u32_e32 vcc, v205, v218                           // 000000008990: 7D93B5CD
	v_cndmask_b32_e32 v66, 0, v66, vcc                         // 000000008994: 00848480
	v_cmp_lt_u32_e32 vcc, v205, v219                           // 000000008998: 7D93B7CD
	v_cndmask_b32_e32 v82, 0, v82, vcc                         // 00000000899C: 00A4A480
	v_cmp_lt_u32_e32 vcc, v205, v220                           // 0000000089A0: 7D93B9CD
	v_cndmask_b32_e32 v98, 0, v98, vcc                         // 0000000089A4: 00C4C480
	v_add_u32_e32 v205, 0xc3, v204                             // 0000000089A8: 699B98FF 000000C3
	v_cmp_lt_u32_e32 vcc, v205, v218                           // 0000000089B0: 7D93B5CD
	v_cndmask_b32_e32 v67, 0, v67, vcc                         // 0000000089B4: 00868680
	v_cmp_lt_u32_e32 vcc, v205, v219                           // 0000000089B8: 7D93B7CD
	v_cndmask_b32_e32 v83, 0, v83, vcc                         // 0000000089BC: 00A6A680
	v_cmp_lt_u32_e32 vcc, v205, v220                           // 0000000089C0: 7D93B9CD
	v_cndmask_b32_e32 v99, 0, v99, vcc                         // 0000000089C4: 00C6C680
	buffer_load_dword v155, v235, s[20:23], 0 offen            // 0000000089C8: E0501000 80059BEB
	v_sub_f32_e32 v170, v164, v167                             // 0000000089D0: 05554FA4
	v_cmp_eq_u32_e64 s[98:99], v222, v164                      // 0000000089D4: D0CA0062 000349DE
	v_cndmask_b32_e64 v170, v170, 0, s[98:99]                  // 0000000089DC: D10000AA 018901AA
	v_mov_b32_e32 v164, v167                                   // 0000000089E4: 7F4803A7
	v_mul_f32_e32 v170, s46, v170                              // 0000000089E8: 0B55542E
	v_exp_f32_e32 v170, v170                                   // 0000000089EC: 7F5441AA
	v_sub_f32_e32 v172, v165, v168                             // 0000000089F0: 055951A5
	v_cmp_eq_u32_e64 s[98:99], v222, v165                      // 0000000089F4: D0CA0062 00034BDE
	v_cndmask_b32_e64 v172, v172, 0, s[98:99]                  // 0000000089FC: D10000AC 018901AC
	v_mov_b32_e32 v165, v168                                   // 000000008A04: 7F4A03A8
	v_mul_f32_e32 v172, s46, v172                              // 000000008A08: 0B59582E
	v_exp_f32_e32 v172, v172                                   // 000000008A0C: 7F5841AC
	v_sub_f32_e32 v174, v166, v169                             // 000000008A10: 055D53A6
	v_cmp_eq_u32_e64 s[98:99], v222, v166                      // 000000008A14: D0CA0062 00034DDE
	v_cndmask_b32_e64 v174, v174, 0, s[98:99]                  // 000000008A1C: D10000AE 018901AE
	v_mov_b32_e32 v166, v169                                   // 000000008A24: 7F4C03A9
	v_mul_f32_e32 v174, s46, v174                              // 000000008A28: 0B5D5C2E
	v_exp_f32_e32 v174, v174                                   // 000000008A2C: 7F5C41AE
	v_mov_b32_e32 v171, v170                                   // 000000008A30: 7F5603AA
	v_mov_b32_e32 v173, v172                                   // 000000008A34: 7F5A03AC
	v_mov_b32_e32 v175, v174                                   // 000000008A38: 7F5E03AE
	s_waitcnt lgkmcnt(0)                                       // 000000008A3C: BF8CC07F
	s_barrier                                                  // 000000008A40: BF8A0000
	buffer_load_dword v157, v236, s[24:27], 0 offen            // 000000008A44: E0501000 80069DEC
	v_mul_f32_e32 v176, v170, v176                             // 000000008A4C: 0B6161AA
	v_mov_b32_e32 v177, 0                                      // 000000008A50: 7F620280
	v_pk_add_f32 v[176:177], v[4:5], v[176:177]                // 000000008A54: D3B240B0 18036104
	v_pk_add_f32 v[176:177], v[6:7], v[176:177]                // 000000008A5C: D3B240B0 18036106
	v_pk_add_f32 v[176:177], v[8:9], v[176:177]                // 000000008A64: D3B240B0 18036108
	v_pk_add_f32 v[176:177], v[10:11], v[176:177]              // 000000008A6C: D3B240B0 1803610A
	v_pk_add_f32 v[176:177], v[12:13], v[176:177]              // 000000008A74: D3B240B0 1803610C
	v_pk_add_f32 v[176:177], v[14:15], v[176:177]              // 000000008A7C: D3B240B0 1803610E
	v_pk_add_f32 v[176:177], v[16:17], v[176:177]              // 000000008A84: D3B240B0 18036110
	v_pk_add_f32 v[176:177], v[18:19], v[176:177]              // 000000008A8C: D3B240B0 18036112
	v_add_f32_e32 v176, v177, v176                             // 000000008A94: 036161B1
	v_mul_f32_e32 v178, v172, v178                             // 000000008A98: 0B6565AC
	v_mov_b32_e32 v179, 0                                      // 000000008A9C: 7F660280
	v_pk_add_f32 v[178:179], v[20:21], v[178:179]              // 000000008AA0: D3B240B2 18036514
	v_pk_add_f32 v[178:179], v[22:23], v[178:179]              // 000000008AA8: D3B240B2 18036516
	v_pk_add_f32 v[178:179], v[24:25], v[178:179]              // 000000008AB0: D3B240B2 18036518
	v_pk_add_f32 v[178:179], v[26:27], v[178:179]              // 000000008AB8: D3B240B2 1803651A
	v_pk_add_f32 v[178:179], v[28:29], v[178:179]              // 000000008AC0: D3B240B2 1803651C
	v_pk_add_f32 v[178:179], v[30:31], v[178:179]              // 000000008AC8: D3B240B2 1803651E
	v_pk_add_f32 v[178:179], v[32:33], v[178:179]              // 000000008AD0: D3B240B2 18036520
	v_pk_add_f32 v[178:179], v[34:35], v[178:179]              // 000000008AD8: D3B240B2 18036522
	v_add_f32_e32 v178, v179, v178                             // 000000008AE0: 036565B3
	v_mul_f32_e32 v180, v174, v180                             // 000000008AE4: 0B6969AE
	v_mov_b32_e32 v181, 0                                      // 000000008AE8: 7F6A0280
	v_pk_add_f32 v[180:181], v[36:37], v[180:181]              // 000000008AEC: D3B240B4 18036924
	v_pk_add_f32 v[180:181], v[38:39], v[180:181]              // 000000008AF4: D3B240B4 18036926
	v_pk_add_f32 v[180:181], v[40:41], v[180:181]              // 000000008AFC: D3B240B4 18036928
	v_pk_add_f32 v[180:181], v[42:43], v[180:181]              // 000000008B04: D3B240B4 1803692A
	v_pk_add_f32 v[180:181], v[44:45], v[180:181]              // 000000008B0C: D3B240B4 1803692C
	v_pk_add_f32 v[180:181], v[46:47], v[180:181]              // 000000008B14: D3B240B4 1803692E
	v_pk_add_f32 v[180:181], v[48:49], v[180:181]              // 000000008B1C: D3B240B4 18036930
	v_pk_add_f32 v[180:181], v[50:51], v[180:181]              // 000000008B24: D3B240B4 18036932
	v_add_f32_e32 v180, v181, v180                             // 000000008B2C: 036969B5
	s_waitcnt lgkmcnt(0)                                       // 000000008B30: BF8CC07F
	v_sub_f32_e32 v182, v182, v164                             // 000000008B34: 056D49B6
	v_sub_f32_e32 v183, v183, v165                             // 000000008B38: 056F4BB7
	v_sub_f32_e32 v184, v184, v166                             // 000000008B3C: 05714DB8
	v_mul_f32_e32 v182, s46, v182                              // 000000008B40: 0B6D6C2E
	v_mul_f32_e32 v183, s46, v183                              // 000000008B44: 0B6F6E2E
	v_mul_f32_e32 v184, s46, v184                              // 000000008B48: 0B71702E
	v_exp_f32_e32 v182, v182                                   // 000000008B4C: 7F6C41B6
	v_exp_f32_e32 v183, v183                                   // 000000008B50: 7F6E41B7
	v_exp_f32_e32 v184, v184                                   // 000000008B54: 7F7041B8
	v_mul_f32_e32 v182, v156, v182                             // 000000008B58: 0B6D6D9C
	v_mul_f32_e32 v183, v156, v183                             // 000000008B5C: 0B6F6F9C
	v_mul_f32_e32 v184, v156, v184                             // 000000008B60: 0B71719C
	v_add_f32_e32 v182, 0x3089705f, v182                       // 000000008B64: 036D6CFF 3089705F
	v_add_f32_e32 v183, 0x3089705f, v183                       // 000000008B6C: 036F6EFF 3089705F
	v_add_f32_e32 v184, 0x3089705f, v184                       // 000000008B74: 037170FF 3089705F
	v_rcp_f32_e32 v182, v182                                   // 000000008B7C: 7F6C45B6
	v_rcp_f32_e32 v183, v183                                   // 000000008B80: 7F6E45B7
	v_rcp_f32_e32 v184, v184                                   // 000000008B84: 7F7045B8
	v_mul_f32_e32 v182, 0x43700000, v182                       // 000000008B88: 0B6D6CFF 43700000
	v_mul_f32_e32 v183, 0x43700000, v183                       // 000000008B90: 0B6F6EFF 43700000
	v_mul_f32_e32 v184, 0x43700000, v184                       // 000000008B98: 0B7170FF 43700000
	v_mov_b32_e32 v186, v184                                   // 000000008BA0: 7F7403B8
	v_mov_b32_e32 v187, v184                                   // 000000008BA4: 7F7603B8
	v_mov_b32_e32 v184, v183                                   // 000000008BA8: 7F7003B7
	v_mov_b32_e32 v185, v183                                   // 000000008BAC: 7F7203B7
	v_mov_b32_e32 v183, v182                                   // 000000008BB0: 7F6E03B6
	v_pk_mul_f32 v[4:5], v[182:183], v[52:53]                  // 000000008BB4: D3B14004 180269B6
	v_pk_mul_f32 v[6:7], v[182:183], v[54:55]                  // 000000008BBC: D3B14006 18026DB6
	v_pk_mul_f32 v[8:9], v[182:183], v[56:57]                  // 000000008BC4: D3B14008 180271B6
	v_pk_mul_f32 v[10:11], v[182:183], v[58:59]                // 000000008BCC: D3B1400A 180275B6
	v_pk_mul_f32 v[12:13], v[182:183], v[60:61]                // 000000008BD4: D3B1400C 180279B6
	v_pk_mul_f32 v[14:15], v[182:183], v[62:63]                // 000000008BDC: D3B1400E 18027DB6
	v_pk_mul_f32 v[16:17], v[182:183], v[64:65]                // 000000008BE4: D3B14010 180281B6
	v_pk_mul_f32 v[18:19], v[182:183], v[66:67]                // 000000008BEC: D3B14012 180285B6
	v_pk_mul_f32 v[20:21], v[184:185], v[68:69]                // 000000008BF4: D3B14014 180289B8
	v_pk_mul_f32 v[22:23], v[184:185], v[70:71]                // 000000008BFC: D3B14016 18028DB8
	v_pk_mul_f32 v[24:25], v[184:185], v[72:73]                // 000000008C04: D3B14018 180291B8
	v_pk_mul_f32 v[26:27], v[184:185], v[74:75]                // 000000008C0C: D3B1401A 180295B8
	v_pk_mul_f32 v[28:29], v[184:185], v[76:77]                // 000000008C14: D3B1401C 180299B8
	v_pk_mul_f32 v[30:31], v[184:185], v[78:79]                // 000000008C1C: D3B1401E 18029DB8
	v_pk_mul_f32 v[32:33], v[184:185], v[80:81]                // 000000008C24: D3B14020 1802A1B8
	v_pk_mul_f32 v[34:35], v[184:185], v[82:83]                // 000000008C2C: D3B14022 1802A5B8
	v_pk_mul_f32 v[36:37], v[186:187], v[84:85]                // 000000008C34: D3B14024 1802A9BA
	v_pk_mul_f32 v[38:39], v[186:187], v[86:87]                // 000000008C3C: D3B14026 1802ADBA
	v_pk_mul_f32 v[40:41], v[186:187], v[88:89]                // 000000008C44: D3B14028 1802B1BA
	v_pk_mul_f32 v[42:43], v[186:187], v[90:91]                // 000000008C4C: D3B1402A 1802B5BA
	v_pk_mul_f32 v[44:45], v[186:187], v[92:93]                // 000000008C54: D3B1402C 1802B9BA
	v_pk_mul_f32 v[46:47], v[186:187], v[94:95]                // 000000008C5C: D3B1402E 1802BDBA
	v_pk_mul_f32 v[48:49], v[186:187], v[96:97]                // 000000008C64: D3B14030 1802C1BA
	v_pk_mul_f32 v[50:51], v[186:187], v[98:99]                // 000000008C6C: D3B14032 1802C5BA
	v_cvt_pk_fp8_f32 v4, v4, v5                                // 000000008C74: D2A20004 00020B04
	v_cvt_pk_fp8_f32 v4, v6, v7 op_sel:[0,0,1]                 // 000000008C7C: D2A24004 00020F06
	v_cvt_pk_fp8_f32 v5, v8, v9                                // 000000008C84: D2A20005 00021308
	v_cvt_pk_fp8_f32 v5, v10, v11 op_sel:[0,0,1]               // 000000008C8C: D2A24005 0002170A
	v_cvt_pk_fp8_f32 v6, v12, v13                              // 000000008C94: D2A20006 00021B0C
	v_cvt_pk_fp8_f32 v6, v14, v15 op_sel:[0,0,1]               // 000000008C9C: D2A24006 00021F0E
	v_cvt_pk_fp8_f32 v7, v16, v17                              // 000000008CA4: D2A20007 00022310
	v_cvt_pk_fp8_f32 v7, v18, v19 op_sel:[0,0,1]               // 000000008CAC: D2A24007 00022712
	v_cvt_pk_fp8_f32 v8, v20, v21                              // 000000008CB4: D2A20008 00022B14
	v_cvt_pk_fp8_f32 v8, v22, v23 op_sel:[0,0,1]               // 000000008CBC: D2A24008 00022F16
	v_cvt_pk_fp8_f32 v9, v24, v25                              // 000000008CC4: D2A20009 00023318
	v_cvt_pk_fp8_f32 v9, v26, v27 op_sel:[0,0,1]               // 000000008CCC: D2A24009 0002371A
	v_cvt_pk_fp8_f32 v10, v28, v29                             // 000000008CD4: D2A2000A 00023B1C
	v_cvt_pk_fp8_f32 v10, v30, v31 op_sel:[0,0,1]              // 000000008CDC: D2A2400A 00023F1E
	v_cvt_pk_fp8_f32 v11, v32, v33                             // 000000008CE4: D2A2000B 00024320
	v_cvt_pk_fp8_f32 v11, v34, v35 op_sel:[0,0,1]              // 000000008CEC: D2A2400B 00024722
	v_cvt_pk_fp8_f32 v12, v36, v37                             // 000000008CF4: D2A2000C 00024B24
	v_cvt_pk_fp8_f32 v12, v38, v39 op_sel:[0,0,1]              // 000000008CFC: D2A2400C 00024F26
	v_cvt_pk_fp8_f32 v13, v40, v41                             // 000000008D04: D2A2000D 00025328
	v_cvt_pk_fp8_f32 v13, v42, v43 op_sel:[0,0,1]              // 000000008D0C: D2A2400D 0002572A
	v_cvt_pk_fp8_f32 v14, v44, v45                             // 000000008D14: D2A2000E 00025B2C
	v_cvt_pk_fp8_f32 v14, v46, v47 op_sel:[0,0,1]              // 000000008D1C: D2A2400E 00025F2E
	v_cvt_pk_fp8_f32 v15, v48, v49                             // 000000008D24: D2A2000F 00026330
	v_cvt_pk_fp8_f32 v15, v50, v51 op_sel:[0,0,1]              // 000000008D2C: D2A2400F 00026732
	ds_write_b32 v251, v4 offset:8192                          // 000000008D34: D81A2000 000004FB
	ds_write_b32 v251, v5 offset:9216                          // 000000008D3C: D81A2400 000005FB
	ds_write_b32 v251, v6 offset:10240                         // 000000008D44: D81A2800 000006FB
	ds_write_b32 v251, v7 offset:11264                         // 000000008D4C: D81A2C00 000007FB
	ds_write_b32 v251, v8 offset:12288                         // 000000008D54: D81A3000 000008FB
	ds_write_b32 v251, v9 offset:13312                         // 000000008D5C: D81A3400 000009FB
	ds_write_b32 v251, v10 offset:14336                        // 000000008D64: D81A3800 00000AFB
	ds_write_b32 v251, v11 offset:15360                        // 000000008D6C: D81A3C00 00000BFB
	ds_write_b32 v251, v12 offset:16384                        // 000000008D74: D81A4000 00000CFB
	ds_write_b32 v251, v13 offset:17408                        // 000000008D7C: D81A4400 00000DFB
	ds_write_b32 v251, v14 offset:18432                        // 000000008D84: D81A4800 00000EFB
	ds_write_b32 v251, v15 offset:19456                        // 000000008D8C: D81A4C00 00000FFB
	v_rcp_f32_e32 v158, v182                                   // 000000008D94: 7F3C45B6
	v_rcp_f32_e32 v160, v184                                   // 000000008D98: 7F4045B8
	v_rcp_f32_e32 v162, v186                                   // 000000008D9C: 7F4445BA
	v_mov_b32_e32 v159, v158                                   // 000000008DA0: 7F3E039E
	v_mov_b32_e32 v161, v160                                   // 000000008DA4: 7F4203A0
	v_mov_b32_e32 v163, v162                                   // 000000008DA8: 7F4603A2
	v_pk_add_f32 v[124:125], v[124:125], v[100:101]            // 000000008DAC: D3B2407C 1802C97C
	v_pk_add_f32 v[126:127], v[126:127], v[102:103]            // 000000008DB4: D3B2407E 1802CD7E
	v_pk_add_f32 v[128:129], v[128:129], v[104:105]            // 000000008DBC: D3B24080 1802D180
	v_pk_add_f32 v[130:131], v[130:131], v[106:107]            // 000000008DC4: D3B24082 1802D582
	v_pk_add_f32 v[132:133], v[132:133], v[108:109]            // 000000008DCC: D3B24084 1802D984
	v_pk_add_f32 v[134:135], v[134:135], v[110:111]            // 000000008DD4: D3B24086 1802DD86
	v_pk_add_f32 v[136:137], v[136:137], v[112:113]            // 000000008DDC: D3B24088 1802E188
	v_pk_add_f32 v[138:139], v[138:139], v[114:115]            // 000000008DE4: D3B2408A 1802E58A
	v_pk_add_f32 v[140:141], v[140:141], v[116:117]            // 000000008DEC: D3B2408C 1802E98C
	v_pk_add_f32 v[142:143], v[142:143], v[118:119]            // 000000008DF4: D3B2408E 1802ED8E
	v_pk_add_f32 v[144:145], v[144:145], v[120:121]            // 000000008DFC: D3B24090 1802F190
	v_pk_add_f32 v[146:147], v[146:147], v[122:123]            // 000000008E04: D3B24092 1802F592
	s_waitcnt lgkmcnt(0)                                       // 000000008E0C: BF8CC07F
	s_barrier                                                  // 000000008E10: BF8A0000
	ds_read_b128 v[4:7], v252 offset:8192                      // 000000008E14: D9FE2000 040000FC
	ds_read_b128 v[8:11], v252 offset:9216                     // 000000008E1C: D9FE2400 080000FC
	ds_read_b128 v[12:15], v252 offset:10240                   // 000000008E24: D9FE2800 0C0000FC
	ds_read_b128 v[16:19], v252 offset:11264                   // 000000008E2C: D9FE2C00 100000FC
	ds_read_b128 v[20:23], v252 offset:12288                   // 000000008E34: D9FE3000 140000FC
	ds_read_b128 v[24:27], v252 offset:13312                   // 000000008E3C: D9FE3400 180000FC
	ds_read_b128 v[28:31], v252 offset:14336                   // 000000008E44: D9FE3800 1C0000FC
	ds_read_b128 v[32:35], v252 offset:15360                   // 000000008E4C: D9FE3C00 200000FC
	ds_read_b128 v[36:39], v252 offset:16384                   // 000000008E54: D9FE4000 240000FC
	ds_read_b128 v[40:43], v252 offset:17408                   // 000000008E5C: D9FE4400 280000FC
	ds_read_b128 v[44:47], v252 offset:18432                   // 000000008E64: D9FE4800 2C0000FC
	ds_read_b128 v[48:51], v252 offset:19456                   // 000000008E6C: D9FE4C00 300000FC
	s_waitcnt vmcnt(10)                                        // 000000008E74: BF8C0F7A
	v_lshrrev_b32_e32 v211, 4, v0                              // 000000008E78: 21A60084
	v_lshlrev_b32_e32 v211, 4, v211                            // 000000008E7C: 25A7A684
	v_add_u32_e32 v204, s64, v211                              // 000000008E80: 6999A640
	v_add_u32_e32 v204, 4, v204                                // 000000008E84: 69999884
	v_sub_i32 v204, v204, s62                                  // 000000008E88: D29D00CC 00007DCC
	s_mov_b32 s54, 0                                           // 000000008E90: BEB60080
	v_add_i32 v205, s54, v204                                  // 000000008E94: D29C00CD 00039836
	v_cmp_lt_i32_e64 vcc, v205, 4                              // 000000008E9C: D0C1006A 000109CD
	v_min_u32_e32 v205, 4, v205                                // 000000008EA4: 1D9B9A84
	v_lshlrev_b32_e32 v205, 3, v205                            // 000000008EA8: 259B9A83
	v_lshrrev_b32_e64 v206, v205, -1                           // 000000008EAC: D11000CE 000183CD
	v_accvgpr_read_b32 v207, a88                               // 000000008EB4: D3D840CF 18000158
	v_cndmask_b32_e32 v207, 0, v207, vcc                       // 000000008EBC: 019F9E80
	v_and_b32_e32 v207, v207, v206                             // 000000008EC0: 279F9DCF
	v_accvgpr_write_b32 a88, v207                              // 000000008EC4: D3D94058 180001CF
	v_accvgpr_read_b32 v207, a104                              // 000000008ECC: D3D840CF 18000168
	v_cndmask_b32_e32 v207, 0, v207, vcc                       // 000000008ED4: 019F9E80
	v_and_b32_e32 v207, v207, v206                             // 000000008ED8: 279F9DCF
	v_accvgpr_write_b32 a104, v207                             // 000000008EDC: D3D94068 180001CF
	s_mov_b32 s54, 4                                           // 000000008EE4: BEB60084
	v_add_i32 v205, s54, v204                                  // 000000008EE8: D29C00CD 00039836
	v_cmp_lt_i32_e64 vcc, v205, 4                              // 000000008EF0: D0C1006A 000109CD
	v_min_u32_e32 v205, 4, v205                                // 000000008EF8: 1D9B9A84
	v_lshlrev_b32_e32 v205, 3, v205                            // 000000008EFC: 259B9A83
	v_lshrrev_b32_e64 v206, v205, -1                           // 000000008F00: D11000CE 000183CD
	v_accvgpr_read_b32 v207, a89                               // 000000008F08: D3D840CF 18000159
	v_cndmask_b32_e32 v207, 0, v207, vcc                       // 000000008F10: 019F9E80
	v_and_b32_e32 v207, v207, v206                             // 000000008F14: 279F9DCF
	v_accvgpr_write_b32 a89, v207                              // 000000008F18: D3D94059 180001CF
	v_accvgpr_read_b32 v207, a105                              // 000000008F20: D3D840CF 18000169
	v_cndmask_b32_e32 v207, 0, v207, vcc                       // 000000008F28: 019F9E80
	v_and_b32_e32 v207, v207, v206                             // 000000008F2C: 279F9DCF
	v_accvgpr_write_b32 a105, v207                             // 000000008F30: D3D94069 180001CF
	s_mov_b32 s54, 8                                           // 000000008F38: BEB60088
	v_add_i32 v205, s54, v204                                  // 000000008F3C: D29C00CD 00039836
	v_cmp_lt_i32_e64 vcc, v205, 4                              // 000000008F44: D0C1006A 000109CD
	v_min_u32_e32 v205, 4, v205                                // 000000008F4C: 1D9B9A84
	v_lshlrev_b32_e32 v205, 3, v205                            // 000000008F50: 259B9A83
	v_lshrrev_b32_e64 v206, v205, -1                           // 000000008F54: D11000CE 000183CD
	v_accvgpr_read_b32 v207, a90                               // 000000008F5C: D3D840CF 1800015A
	v_cndmask_b32_e32 v207, 0, v207, vcc                       // 000000008F64: 019F9E80
	v_and_b32_e32 v207, v207, v206                             // 000000008F68: 279F9DCF
	v_accvgpr_write_b32 a90, v207                              // 000000008F6C: D3D9405A 180001CF
	v_accvgpr_read_b32 v207, a106                              // 000000008F74: D3D840CF 1800016A
	v_cndmask_b32_e32 v207, 0, v207, vcc                       // 000000008F7C: 019F9E80
	v_and_b32_e32 v207, v207, v206                             // 000000008F80: 279F9DCF
	v_accvgpr_write_b32 a106, v207                             // 000000008F84: D3D9406A 180001CF
	s_mov_b32 s54, 12                                          // 000000008F8C: BEB6008C
	v_add_i32 v205, s54, v204                                  // 000000008F90: D29C00CD 00039836
	v_cmp_lt_i32_e64 vcc, v205, 4                              // 000000008F98: D0C1006A 000109CD
	v_min_u32_e32 v205, 4, v205                                // 000000008FA0: 1D9B9A84
	v_lshlrev_b32_e32 v205, 3, v205                            // 000000008FA4: 259B9A83
	v_lshrrev_b32_e64 v206, v205, -1                           // 000000008FA8: D11000CE 000183CD
	v_accvgpr_read_b32 v207, a91                               // 000000008FB0: D3D840CF 1800015B
	v_cndmask_b32_e32 v207, 0, v207, vcc                       // 000000008FB8: 019F9E80
	v_and_b32_e32 v207, v207, v206                             // 000000008FBC: 279F9DCF
	v_accvgpr_write_b32 a91, v207                              // 000000008FC0: D3D9405B 180001CF
	v_accvgpr_read_b32 v207, a107                              // 000000008FC8: D3D840CF 1800016B
	v_cndmask_b32_e32 v207, 0, v207, vcc                       // 000000008FD0: 019F9E80
	v_and_b32_e32 v207, v207, v206                             // 000000008FD4: 279F9DCF
	v_accvgpr_write_b32 a107, v207                             // 000000008FD8: D3D9406B 180001CF
	s_mov_b32 s54, 64                                          // 000000008FE0: BEB600C0
	v_add_i32 v205, s54, v204                                  // 000000008FE4: D29C00CD 00039836
	v_cmp_lt_i32_e64 vcc, v205, 4                              // 000000008FEC: D0C1006A 000109CD
	v_min_u32_e32 v205, 4, v205                                // 000000008FF4: 1D9B9A84
	v_lshlrev_b32_e32 v205, 3, v205                            // 000000008FF8: 259B9A83
	v_lshrrev_b32_e64 v206, v205, -1                           // 000000008FFC: D11000CE 000183CD
	v_accvgpr_read_b32 v207, a92                               // 000000009004: D3D840CF 1800015C
	v_cndmask_b32_e32 v207, 0, v207, vcc                       // 00000000900C: 019F9E80
	v_and_b32_e32 v207, v207, v206                             // 000000009010: 279F9DCF
	v_accvgpr_write_b32 a92, v207                              // 000000009014: D3D9405C 180001CF
	v_accvgpr_read_b32 v207, a108                              // 00000000901C: D3D840CF 1800016C
	v_cndmask_b32_e32 v207, 0, v207, vcc                       // 000000009024: 019F9E80
	v_and_b32_e32 v207, v207, v206                             // 000000009028: 279F9DCF
	v_accvgpr_write_b32 a108, v207                             // 00000000902C: D3D9406C 180001CF
	s_mov_b32 s54, 0x44                                        // 000000009034: BEB600FF 00000044
	v_add_i32 v205, s54, v204                                  // 00000000903C: D29C00CD 00039836
	v_cmp_lt_i32_e64 vcc, v205, 4                              // 000000009044: D0C1006A 000109CD
	v_min_u32_e32 v205, 4, v205                                // 00000000904C: 1D9B9A84
	v_lshlrev_b32_e32 v205, 3, v205                            // 000000009050: 259B9A83
	v_lshrrev_b32_e64 v206, v205, -1                           // 000000009054: D11000CE 000183CD
	v_accvgpr_read_b32 v207, a93                               // 00000000905C: D3D840CF 1800015D
	v_cndmask_b32_e32 v207, 0, v207, vcc                       // 000000009064: 019F9E80
	v_and_b32_e32 v207, v207, v206                             // 000000009068: 279F9DCF
	v_accvgpr_write_b32 a93, v207                              // 00000000906C: D3D9405D 180001CF
	v_accvgpr_read_b32 v207, a109                              // 000000009074: D3D840CF 1800016D
	v_cndmask_b32_e32 v207, 0, v207, vcc                       // 00000000907C: 019F9E80
	v_and_b32_e32 v207, v207, v206                             // 000000009080: 279F9DCF
	v_accvgpr_write_b32 a109, v207                             // 000000009084: D3D9406D 180001CF
	s_mov_b32 s54, 0x48                                        // 00000000908C: BEB600FF 00000048
	v_add_i32 v205, s54, v204                                  // 000000009094: D29C00CD 00039836
	v_cmp_lt_i32_e64 vcc, v205, 4                              // 00000000909C: D0C1006A 000109CD
	v_min_u32_e32 v205, 4, v205                                // 0000000090A4: 1D9B9A84
	v_lshlrev_b32_e32 v205, 3, v205                            // 0000000090A8: 259B9A83
	v_lshrrev_b32_e64 v206, v205, -1                           // 0000000090AC: D11000CE 000183CD
	v_accvgpr_read_b32 v207, a94                               // 0000000090B4: D3D840CF 1800015E
	v_cndmask_b32_e32 v207, 0, v207, vcc                       // 0000000090BC: 019F9E80
	v_and_b32_e32 v207, v207, v206                             // 0000000090C0: 279F9DCF
	v_accvgpr_write_b32 a94, v207                              // 0000000090C4: D3D9405E 180001CF
	v_accvgpr_read_b32 v207, a110                              // 0000000090CC: D3D840CF 1800016E
	v_cndmask_b32_e32 v207, 0, v207, vcc                       // 0000000090D4: 019F9E80
	v_and_b32_e32 v207, v207, v206                             // 0000000090D8: 279F9DCF
	v_accvgpr_write_b32 a110, v207                             // 0000000090DC: D3D9406E 180001CF
	s_mov_b32 s54, 0x4c                                        // 0000000090E4: BEB600FF 0000004C
	v_add_i32 v205, s54, v204                                  // 0000000090EC: D29C00CD 00039836
	v_cmp_lt_i32_e64 vcc, v205, 4                              // 0000000090F4: D0C1006A 000109CD
	v_min_u32_e32 v205, 4, v205                                // 0000000090FC: 1D9B9A84
	v_lshlrev_b32_e32 v205, 3, v205                            // 000000009100: 259B9A83
	v_lshrrev_b32_e64 v206, v205, -1                           // 000000009104: D11000CE 000183CD
	v_accvgpr_read_b32 v207, a95                               // 00000000910C: D3D840CF 1800015F
	v_cndmask_b32_e32 v207, 0, v207, vcc                       // 000000009114: 019F9E80
	v_and_b32_e32 v207, v207, v206                             // 000000009118: 279F9DCF
	v_accvgpr_write_b32 a95, v207                              // 00000000911C: D3D9405F 180001CF
	v_accvgpr_read_b32 v207, a111                              // 000000009124: D3D840CF 1800016F
	v_cndmask_b32_e32 v207, 0, v207, vcc                       // 00000000912C: 019F9E80
	v_and_b32_e32 v207, v207, v206                             // 000000009130: 279F9DCF
	v_accvgpr_write_b32 a111, v207                             // 000000009134: D3D9406F 180001CF
	s_mov_b32 s54, 0x80                                        // 00000000913C: BEB600FF 00000080
	v_add_i32 v205, s54, v204                                  // 000000009144: D29C00CD 00039836
	v_cmp_lt_i32_e64 vcc, v205, 4                              // 00000000914C: D0C1006A 000109CD
	v_min_u32_e32 v205, 4, v205                                // 000000009154: 1D9B9A84
	v_lshlrev_b32_e32 v205, 3, v205                            // 000000009158: 259B9A83
	v_lshrrev_b32_e64 v206, v205, -1                           // 00000000915C: D11000CE 000183CD
	v_accvgpr_read_b32 v207, a96                               // 000000009164: D3D840CF 18000160
	v_cndmask_b32_e32 v207, 0, v207, vcc                       // 00000000916C: 019F9E80
	v_and_b32_e32 v207, v207, v206                             // 000000009170: 279F9DCF
	v_accvgpr_write_b32 a96, v207                              // 000000009174: D3D94060 180001CF
	v_accvgpr_read_b32 v207, a112                              // 00000000917C: D3D840CF 18000170
	v_cndmask_b32_e32 v207, 0, v207, vcc                       // 000000009184: 019F9E80
	v_and_b32_e32 v207, v207, v206                             // 000000009188: 279F9DCF
	v_accvgpr_write_b32 a112, v207                             // 00000000918C: D3D94070 180001CF
	s_mov_b32 s54, 0x84                                        // 000000009194: BEB600FF 00000084
	v_add_i32 v205, s54, v204                                  // 00000000919C: D29C00CD 00039836
	v_cmp_lt_i32_e64 vcc, v205, 4                              // 0000000091A4: D0C1006A 000109CD
	v_min_u32_e32 v205, 4, v205                                // 0000000091AC: 1D9B9A84
	v_lshlrev_b32_e32 v205, 3, v205                            // 0000000091B0: 259B9A83
	v_lshrrev_b32_e64 v206, v205, -1                           // 0000000091B4: D11000CE 000183CD
	v_accvgpr_read_b32 v207, a97                               // 0000000091BC: D3D840CF 18000161
	v_cndmask_b32_e32 v207, 0, v207, vcc                       // 0000000091C4: 019F9E80
	v_and_b32_e32 v207, v207, v206                             // 0000000091C8: 279F9DCF
	v_accvgpr_write_b32 a97, v207                              // 0000000091CC: D3D94061 180001CF
	v_accvgpr_read_b32 v207, a113                              // 0000000091D4: D3D840CF 18000171
	v_cndmask_b32_e32 v207, 0, v207, vcc                       // 0000000091DC: 019F9E80
	v_and_b32_e32 v207, v207, v206                             // 0000000091E0: 279F9DCF
	v_accvgpr_write_b32 a113, v207                             // 0000000091E4: D3D94071 180001CF
	s_mov_b32 s54, 0x88                                        // 0000000091EC: BEB600FF 00000088
	v_add_i32 v205, s54, v204                                  // 0000000091F4: D29C00CD 00039836
	v_cmp_lt_i32_e64 vcc, v205, 4                              // 0000000091FC: D0C1006A 000109CD
	v_min_u32_e32 v205, 4, v205                                // 000000009204: 1D9B9A84
	v_lshlrev_b32_e32 v205, 3, v205                            // 000000009208: 259B9A83
	v_lshrrev_b32_e64 v206, v205, -1                           // 00000000920C: D11000CE 000183CD
	v_accvgpr_read_b32 v207, a98                               // 000000009214: D3D840CF 18000162
	v_cndmask_b32_e32 v207, 0, v207, vcc                       // 00000000921C: 019F9E80
	v_and_b32_e32 v207, v207, v206                             // 000000009220: 279F9DCF
	v_accvgpr_write_b32 a98, v207                              // 000000009224: D3D94062 180001CF
	v_accvgpr_read_b32 v207, a114                              // 00000000922C: D3D840CF 18000172
	v_cndmask_b32_e32 v207, 0, v207, vcc                       // 000000009234: 019F9E80
	v_and_b32_e32 v207, v207, v206                             // 000000009238: 279F9DCF
	v_accvgpr_write_b32 a114, v207                             // 00000000923C: D3D94072 180001CF
	s_mov_b32 s54, 0x8c                                        // 000000009244: BEB600FF 0000008C
	v_add_i32 v205, s54, v204                                  // 00000000924C: D29C00CD 00039836
	v_cmp_lt_i32_e64 vcc, v205, 4                              // 000000009254: D0C1006A 000109CD
	v_min_u32_e32 v205, 4, v205                                // 00000000925C: 1D9B9A84
	v_lshlrev_b32_e32 v205, 3, v205                            // 000000009260: 259B9A83
	v_lshrrev_b32_e64 v206, v205, -1                           // 000000009264: D11000CE 000183CD
	v_accvgpr_read_b32 v207, a99                               // 00000000926C: D3D840CF 18000163
	v_cndmask_b32_e32 v207, 0, v207, vcc                       // 000000009274: 019F9E80
	v_and_b32_e32 v207, v207, v206                             // 000000009278: 279F9DCF
	v_accvgpr_write_b32 a99, v207                              // 00000000927C: D3D94063 180001CF
	v_accvgpr_read_b32 v207, a115                              // 000000009284: D3D840CF 18000173
	v_cndmask_b32_e32 v207, 0, v207, vcc                       // 00000000928C: 019F9E80
	v_and_b32_e32 v207, v207, v206                             // 000000009290: 279F9DCF
	v_accvgpr_write_b32 a115, v207                             // 000000009294: D3D94073 180001CF
	s_mov_b32 s54, 0xc0                                        // 00000000929C: BEB600FF 000000C0
	v_add_i32 v205, s54, v204                                  // 0000000092A4: D29C00CD 00039836
	v_cmp_lt_i32_e64 vcc, v205, 4                              // 0000000092AC: D0C1006A 000109CD
	v_min_u32_e32 v205, 4, v205                                // 0000000092B4: 1D9B9A84
	v_lshlrev_b32_e32 v205, 3, v205                            // 0000000092B8: 259B9A83
	v_lshrrev_b32_e64 v206, v205, -1                           // 0000000092BC: D11000CE 000183CD
	v_accvgpr_read_b32 v207, a100                              // 0000000092C4: D3D840CF 18000164
	v_cndmask_b32_e32 v207, 0, v207, vcc                       // 0000000092CC: 019F9E80
	v_and_b32_e32 v207, v207, v206                             // 0000000092D0: 279F9DCF
	v_accvgpr_write_b32 a100, v207                             // 0000000092D4: D3D94064 180001CF
	v_accvgpr_read_b32 v207, a116                              // 0000000092DC: D3D840CF 18000174
	v_cndmask_b32_e32 v207, 0, v207, vcc                       // 0000000092E4: 019F9E80
	v_and_b32_e32 v207, v207, v206                             // 0000000092E8: 279F9DCF
	v_accvgpr_write_b32 a116, v207                             // 0000000092EC: D3D94074 180001CF
	s_mov_b32 s54, 0xc4                                        // 0000000092F4: BEB600FF 000000C4
	v_add_i32 v205, s54, v204                                  // 0000000092FC: D29C00CD 00039836
	v_cmp_lt_i32_e64 vcc, v205, 4                              // 000000009304: D0C1006A 000109CD
	v_min_u32_e32 v205, 4, v205                                // 00000000930C: 1D9B9A84
	v_lshlrev_b32_e32 v205, 3, v205                            // 000000009310: 259B9A83
	v_lshrrev_b32_e64 v206, v205, -1                           // 000000009314: D11000CE 000183CD
	v_accvgpr_read_b32 v207, a101                              // 00000000931C: D3D840CF 18000165
	v_cndmask_b32_e32 v207, 0, v207, vcc                       // 000000009324: 019F9E80
	v_and_b32_e32 v207, v207, v206                             // 000000009328: 279F9DCF
	v_accvgpr_write_b32 a101, v207                             // 00000000932C: D3D94065 180001CF
	v_accvgpr_read_b32 v207, a117                              // 000000009334: D3D840CF 18000175
	v_cndmask_b32_e32 v207, 0, v207, vcc                       // 00000000933C: 019F9E80
	v_and_b32_e32 v207, v207, v206                             // 000000009340: 279F9DCF
	v_accvgpr_write_b32 a117, v207                             // 000000009344: D3D94075 180001CF
	s_mov_b32 s54, 0xc8                                        // 00000000934C: BEB600FF 000000C8
	v_add_i32 v205, s54, v204                                  // 000000009354: D29C00CD 00039836
	v_cmp_lt_i32_e64 vcc, v205, 4                              // 00000000935C: D0C1006A 000109CD
	v_min_u32_e32 v205, 4, v205                                // 000000009364: 1D9B9A84
	v_lshlrev_b32_e32 v205, 3, v205                            // 000000009368: 259B9A83
	v_lshrrev_b32_e64 v206, v205, -1                           // 00000000936C: D11000CE 000183CD
	v_accvgpr_read_b32 v207, a102                              // 000000009374: D3D840CF 18000166
	v_cndmask_b32_e32 v207, 0, v207, vcc                       // 00000000937C: 019F9E80
	v_and_b32_e32 v207, v207, v206                             // 000000009380: 279F9DCF
	v_accvgpr_write_b32 a102, v207                             // 000000009384: D3D94066 180001CF
	v_accvgpr_read_b32 v207, a118                              // 00000000938C: D3D840CF 18000176
	v_cndmask_b32_e32 v207, 0, v207, vcc                       // 000000009394: 019F9E80
	v_and_b32_e32 v207, v207, v206                             // 000000009398: 279F9DCF
	v_accvgpr_write_b32 a118, v207                             // 00000000939C: D3D94076 180001CF
	s_mov_b32 s54, 0xcc                                        // 0000000093A4: BEB600FF 000000CC
	v_add_i32 v205, s54, v204                                  // 0000000093AC: D29C00CD 00039836
	v_cmp_lt_i32_e64 vcc, v205, 4                              // 0000000093B4: D0C1006A 000109CD
	v_min_u32_e32 v205, 4, v205                                // 0000000093BC: 1D9B9A84
	v_lshlrev_b32_e32 v205, 3, v205                            // 0000000093C0: 259B9A83
	v_lshrrev_b32_e64 v206, v205, -1                           // 0000000093C4: D11000CE 000183CD
	v_accvgpr_read_b32 v207, a103                              // 0000000093CC: D3D840CF 18000167
	v_cndmask_b32_e32 v207, 0, v207, vcc                       // 0000000093D4: 019F9E80
	v_and_b32_e32 v207, v207, v206                             // 0000000093D8: 279F9DCF
	v_accvgpr_write_b32 a103, v207                             // 0000000093DC: D3D94067 180001CF
	v_accvgpr_read_b32 v207, a119                              // 0000000093E4: D3D840CF 18000177
	v_cndmask_b32_e32 v207, 0, v207, vcc                       // 0000000093EC: 019F9E80
	v_and_b32_e32 v207, v207, v206                             // 0000000093F0: 279F9DCF
	v_accvgpr_write_b32 a119, v207                             // 0000000093F4: D3D94077 180001CF
	s_waitcnt lgkmcnt(11)                                      // 0000000093FC: BF8CCB7F
	v_mfma_f32_16x16x32_fp8_fp8 v[100:103], a[88:89], v[4:5], 0// 000000009400: D3F30064 0A020958
	v_mfma_f32_16x16x32_fp8_fp8 v[104:107], a[104:105], v[4:5], 0// 000000009408: D3F30068 0A020968
	v_mfma_f32_16x16x32_fp8_fp8 v[100:103], a[90:91], v[6:7], v[100:103]// 000000009410: D3F30064 0D920D5A
	buffer_load_dwordx4 a[120:123], v231, s[16:19], 0 offen    // 000000009418: E05C1000 808478E7
	v_mfma_f32_16x16x32_fp8_fp8 v[104:107], a[106:107], v[6:7], v[104:107]// 000000009420: D3F30068 0DA20D6A
	s_waitcnt lgkmcnt(10)                                      // 000000009428: BF8CCA7F
	v_mfma_f32_16x16x32_fp8_fp8 v[100:103], a[92:93], v[8:9], v[100:103]// 00000000942C: D3F30064 0D92115C
	v_mfma_f32_16x16x32_fp8_fp8 v[104:107], a[108:109], v[8:9], v[104:107]// 000000009434: D3F30068 0DA2116C
	v_mfma_f32_16x16x32_fp8_fp8 v[100:103], a[94:95], v[10:11], v[100:103]// 00000000943C: D3F30064 0D92155E
	buffer_load_dwordx4 a[124:127], v232, s[16:19], 0 offen    // 000000009444: E05C1000 80847CE8
	v_mfma_f32_16x16x32_fp8_fp8 v[104:107], a[110:111], v[10:11], v[104:107]// 00000000944C: D3F30068 0DA2156E
	s_waitcnt lgkmcnt(9)                                       // 000000009454: BF8CC97F
	v_mfma_f32_16x16x32_fp8_fp8 v[100:103], a[96:97], v[12:13], v[100:103]// 000000009458: D3F30064 0D921960
	v_mfma_f32_16x16x32_fp8_fp8 v[104:107], a[112:113], v[12:13], v[104:107]// 000000009460: D3F30068 0DA21970
	v_mfma_f32_16x16x32_fp8_fp8 v[100:103], a[98:99], v[14:15], v[100:103]// 000000009468: D3F30064 0D921D62
	buffer_load_dwordx4 a[128:131], v233, s[16:19], 0 offen    // 000000009470: E05C1000 808480E9
	v_mfma_f32_16x16x32_fp8_fp8 v[104:107], a[114:115], v[14:15], v[104:107]// 000000009478: D3F30068 0DA21D72
	s_waitcnt lgkmcnt(8)                                       // 000000009480: BF8CC87F
	v_mfma_f32_16x16x32_fp8_fp8 v[100:103], a[100:101], v[16:17], v[100:103]// 000000009484: D3F30064 0D922164
	v_mfma_f32_16x16x32_fp8_fp8 v[104:107], a[116:117], v[16:17], v[104:107]// 00000000948C: D3F30068 0DA22174
	v_mfma_f32_16x16x32_fp8_fp8 v[100:103], a[102:103], v[18:19], v[100:103]// 000000009494: D3F30064 0D922566
	buffer_load_dwordx4 a[132:135], v234, s[16:19], 0 offen    // 00000000949C: E05C1000 808484EA
	v_mfma_f32_16x16x32_fp8_fp8 v[104:107], a[118:119], v[18:19], v[104:107]// 0000000094A4: D3F30068 0DA22576
	s_waitcnt lgkmcnt(7)                                       // 0000000094AC: BF8CC77F
	v_mfma_f32_16x16x32_fp8_fp8 v[108:111], a[88:89], v[20:21], 0// 0000000094B0: D3F3006C 0A022958
	v_mfma_f32_16x16x32_fp8_fp8 v[112:115], a[104:105], v[20:21], 0// 0000000094B8: D3F30070 0A022968
	v_mfma_f32_16x16x32_fp8_fp8 v[108:111], a[90:91], v[22:23], v[108:111]// 0000000094C0: D3F3006C 0DB22D5A
	buffer_load_dwordx4 a[136:139], v231, s[16:19], 0 offen offset:1024// 0000000094C8: E05C1400 808488E7
	v_mfma_f32_16x16x32_fp8_fp8 v[112:115], a[106:107], v[22:23], v[112:115]// 0000000094D0: D3F30070 0DC22D6A
	s_waitcnt lgkmcnt(6)                                       // 0000000094D8: BF8CC67F
	v_mfma_f32_16x16x32_fp8_fp8 v[108:111], a[92:93], v[24:25], v[108:111]// 0000000094DC: D3F3006C 0DB2315C
	v_mfma_f32_16x16x32_fp8_fp8 v[112:115], a[108:109], v[24:25], v[112:115]// 0000000094E4: D3F30070 0DC2316C
	v_mfma_f32_16x16x32_fp8_fp8 v[108:111], a[94:95], v[26:27], v[108:111]// 0000000094EC: D3F3006C 0DB2355E
	buffer_load_dwordx4 a[140:143], v232, s[16:19], 0 offen offset:1024// 0000000094F4: E05C1400 80848CE8
	v_mfma_f32_16x16x32_fp8_fp8 v[112:115], a[110:111], v[26:27], v[112:115]// 0000000094FC: D3F30070 0DC2356E
	s_waitcnt lgkmcnt(5)                                       // 000000009504: BF8CC57F
	v_mfma_f32_16x16x32_fp8_fp8 v[108:111], a[96:97], v[28:29], v[108:111]// 000000009508: D3F3006C 0DB23960
	v_mfma_f32_16x16x32_fp8_fp8 v[112:115], a[112:113], v[28:29], v[112:115]// 000000009510: D3F30070 0DC23970
	v_mfma_f32_16x16x32_fp8_fp8 v[108:111], a[98:99], v[30:31], v[108:111]// 000000009518: D3F3006C 0DB23D62
	buffer_load_dwordx4 a[144:147], v233, s[16:19], 0 offen offset:1024// 000000009520: E05C1400 808490E9
	v_mfma_f32_16x16x32_fp8_fp8 v[112:115], a[114:115], v[30:31], v[112:115]// 000000009528: D3F30070 0DC23D72
	s_waitcnt lgkmcnt(4)                                       // 000000009530: BF8CC47F
	v_mfma_f32_16x16x32_fp8_fp8 v[108:111], a[100:101], v[32:33], v[108:111]// 000000009534: D3F3006C 0DB24164
	v_mfma_f32_16x16x32_fp8_fp8 v[112:115], a[116:117], v[32:33], v[112:115]// 00000000953C: D3F30070 0DC24174
	v_mfma_f32_16x16x32_fp8_fp8 v[108:111], a[102:103], v[34:35], v[108:111]// 000000009544: D3F3006C 0DB24566
	buffer_load_dwordx4 a[148:151], v234, s[16:19], 0 offen offset:1024// 00000000954C: E05C1400 808494EA
	v_mfma_f32_16x16x32_fp8_fp8 v[112:115], a[118:119], v[34:35], v[112:115]// 000000009554: D3F30070 0DC24576
	s_waitcnt lgkmcnt(3)                                       // 00000000955C: BF8CC37F
	v_mfma_f32_16x16x32_fp8_fp8 v[116:119], a[88:89], v[36:37], 0// 000000009560: D3F30074 0A024958
	v_mfma_f32_16x16x32_fp8_fp8 v[120:123], a[104:105], v[36:37], 0// 000000009568: D3F30078 0A024968
	v_mfma_f32_16x16x32_fp8_fp8 v[116:119], a[90:91], v[38:39], v[116:119]// 000000009570: D3F30074 0DD24D5A
	v_mfma_f32_16x16x32_fp8_fp8 v[120:123], a[106:107], v[38:39], v[120:123]// 000000009578: D3F30078 0DE24D6A
	s_waitcnt lgkmcnt(2)                                       // 000000009580: BF8CC27F
	v_mfma_f32_16x16x32_fp8_fp8 v[116:119], a[92:93], v[40:41], v[116:119]// 000000009584: D3F30074 0DD2515C
	v_mfma_f32_16x16x32_fp8_fp8 v[120:123], a[108:109], v[40:41], v[120:123]// 00000000958C: D3F30078 0DE2516C
	v_mfma_f32_16x16x32_fp8_fp8 v[116:119], a[94:95], v[42:43], v[116:119]// 000000009594: D3F30074 0DD2555E
	v_mfma_f32_16x16x32_fp8_fp8 v[120:123], a[110:111], v[42:43], v[120:123]// 00000000959C: D3F30078 0DE2556E
	s_waitcnt lgkmcnt(1)                                       // 0000000095A4: BF8CC17F
	v_mfma_f32_16x16x32_fp8_fp8 v[116:119], a[96:97], v[44:45], v[116:119]// 0000000095A8: D3F30074 0DD25960
	v_mfma_f32_16x16x32_fp8_fp8 v[120:123], a[112:113], v[44:45], v[120:123]// 0000000095B0: D3F30078 0DE25970
	v_mfma_f32_16x16x32_fp8_fp8 v[116:119], a[98:99], v[46:47], v[116:119]// 0000000095B8: D3F30074 0DD25D62
	v_mfma_f32_16x16x32_fp8_fp8 v[120:123], a[114:115], v[46:47], v[120:123]// 0000000095C0: D3F30078 0DE25D72
	s_waitcnt lgkmcnt(0)                                       // 0000000095C8: BF8CC07F
	v_mfma_f32_16x16x32_fp8_fp8 v[116:119], a[100:101], v[48:49], v[116:119]// 0000000095CC: D3F30074 0DD26164
	v_mfma_f32_16x16x32_fp8_fp8 v[120:123], a[116:117], v[48:49], v[120:123]// 0000000095D4: D3F30078 0DE26174
	v_mfma_f32_16x16x32_fp8_fp8 v[116:119], a[102:103], v[50:51], v[116:119]// 0000000095DC: D3F30074 0DD26566
	v_mfma_f32_16x16x32_fp8_fp8 v[120:123], a[118:119], v[50:51], v[120:123]// 0000000095E4: D3F30078 0DE26576
	s_addk_i32 s64, 0x100                                      // 0000000095EC: B7400100
	s_branch label_1BFD                                        // 0000000095F0: BF820000

00000000000095f4 <label_1BFD>:
	s_cmp_lt_i32 s64, s62                                      // 0000000095F4: BF043E40
	s_cbranch_scc0 label_2346                                  // 0000000095F8: BF840747
	s_waitcnt vmcnt(10)                                        // 0000000095FC: BF8C0F7A
	s_lshl_b32 s68, s76, 2                                     // 000000009600: 8E44824C
	s_cmp_lt_u32 s76, s77                                      // 000000009604: BF0A4D4C
	s_cselect_b32 s68, s68, 0                                  // 000000009608: 85448044
	s_addk_i32 s76, 0x1                                        // 00000000960C: B74C0001
	s_load_dword s59, s[42:43], s68                            // 000000009610: C0000ED5 00000044
	s_waitcnt lgkmcnt(0)                                       // 000000009618: BF8CC07F
	s_mul_i32 s69, s59, s50                                    // 00000000961C: 9245323B
	s_mul_i32 s71, s59, s66                                    // 000000009620: 9247423B
	s_mul_i32 s54, s78, s51                                    // 000000009624: 9236334E
	s_add_u32 s69, s69, s54                                    // 000000009628: 80453645
	s_mov_b32 s70, s69                                         // 00000000962C: BEC60045
	s_mul_i32 s54, s78, 4                                      // 000000009630: 9236844E
	s_add_u32 s71, s71, s54                                    // 000000009634: 80473647
	s_add_u32 s12, s86, s69                                    // 000000009638: 800C4556
	s_addc_u32 s13, s87, 0                                     // 00000000963C: 820D8057
	s_add_u32 s16, s88, s70                                    // 000000009640: 80104658
	s_addc_u32 s17, s89, 0                                     // 000000009644: 82118059
	s_add_u32 s20, s90, s71                                    // 000000009648: 8014475A
	s_addc_u32 s21, s91, 0                                     // 00000000964C: 8215805B
	s_add_u32 s24, s92, s71                                    // 000000009650: 8018475C
	s_addc_u32 s25, s93, 0                                     // 000000009654: 8219805D
	v_mfma_f32_16x16x32_fp8_fp8 v[4:7], a[56:57], a[0:1], 0    // 000000009658: D3F30004 1A020138
	v_mfma_f32_16x16x32_fp8_fp8 v[4:7], a[58:59], a[2:3], v[4:7]// 000000009660: D3F30004 1C12053A
	v_mfma_f32_16x16x32_fp8_fp8 v[4:7], a[60:61], a[4:5], v[4:7]// 000000009668: D3F30004 1C12093C
	buffer_load_dwordx4 a[24:27], v229, s[12:15], 0 offen      // 000000009670: E05C1000 808318E5
	v_mfma_f32_16x16x32_fp8_fp8 v[4:7], a[62:63], a[6:7], v[4:7]// 000000009678: D3F30004 1C120D3E
	v_mfma_f32_16x16x32_fp8_fp8 v[8:11], a[64:65], a[0:1], 0   // 000000009680: D3F30008 1A020140
	v_mfma_f32_16x16x32_fp8_fp8 v[8:11], a[66:67], a[2:3], v[8:11]// 000000009688: D3F30008 1C220542
	v_mfma_f32_16x16x32_fp8_fp8 v[8:11], a[68:69], a[4:5], v[8:11]// 000000009690: D3F30008 1C220944
	buffer_load_dwordx4 a[28:31], v230, s[12:15], 0 offen      // 000000009698: E05C1000 80831CE6
	v_mfma_f32_16x16x32_fp8_fp8 v[8:11], a[70:71], a[6:7], v[8:11]// 0000000096A0: D3F30008 1C220D46
	v_mfma_f32_16x16x32_fp8_fp8 v[12:15], a[72:73], a[0:1], 0  // 0000000096A8: D3F3000C 1A020148
	v_mfma_f32_16x16x32_fp8_fp8 v[12:15], a[74:75], a[2:3], v[12:15]// 0000000096B0: D3F3000C 1C32054A
	v_mfma_f32_16x16x32_fp8_fp8 v[12:15], a[76:77], a[4:5], v[12:15]// 0000000096B8: D3F3000C 1C32094C
	buffer_load_dwordx4 a[32:35], v229, s[12:15], 0 offen offset:1024// 0000000096C0: E05C1400 808320E5
	v_mfma_f32_16x16x32_fp8_fp8 v[12:15], a[78:79], a[6:7], v[12:15]// 0000000096C8: D3F3000C 1C320D4E
	v_mfma_f32_16x16x32_fp8_fp8 v[16:19], a[80:81], a[0:1], 0  // 0000000096D0: D3F30010 1A020150
	v_mfma_f32_16x16x32_fp8_fp8 v[16:19], a[82:83], a[2:3], v[16:19]// 0000000096D8: D3F30010 1C420552
	v_mfma_f32_16x16x32_fp8_fp8 v[16:19], a[84:85], a[4:5], v[16:19]// 0000000096E0: D3F30010 1C420954
	buffer_load_dwordx4 a[36:39], v230, s[12:15], 0 offen offset:1024// 0000000096E8: E05C1400 808324E6
	v_mfma_f32_16x16x32_fp8_fp8 v[16:19], a[86:87], a[6:7], v[16:19]// 0000000096F0: D3F30010 1C420D56
	v_mfma_f32_16x16x32_fp8_fp8 v[20:23], a[56:57], a[8:9], 0  // 0000000096F8: D3F30014 1A021138
	v_mfma_f32_16x16x32_fp8_fp8 v[20:23], a[58:59], a[10:11], v[20:23]// 000000009700: D3F30014 1C52153A
	v_mfma_f32_16x16x32_fp8_fp8 v[20:23], a[60:61], a[12:13], v[20:23]// 000000009708: D3F30014 1C52193C
	buffer_load_dwordx4 a[40:43], v229, s[12:15], 0 offen offset:2048// 000000009710: E05C1800 808328E5
	v_mfma_f32_16x16x32_fp8_fp8 v[20:23], a[62:63], a[14:15], v[20:23]// 000000009718: D3F30014 1C521D3E
	v_mfma_f32_16x16x32_fp8_fp8 v[24:27], a[64:65], a[8:9], 0  // 000000009720: D3F30018 1A021140
	v_mfma_f32_16x16x32_fp8_fp8 v[24:27], a[66:67], a[10:11], v[24:27]// 000000009728: D3F30018 1C621542
	v_mfma_f32_16x16x32_fp8_fp8 v[24:27], a[68:69], a[12:13], v[24:27]// 000000009730: D3F30018 1C621944
	buffer_load_dwordx4 a[44:47], v230, s[12:15], 0 offen offset:2048// 000000009738: E05C1800 80832CE6
	v_mfma_f32_16x16x32_fp8_fp8 v[24:27], a[70:71], a[14:15], v[24:27]// 000000009740: D3F30018 1C621D46
	v_mfma_f32_16x16x32_fp8_fp8 v[28:31], a[72:73], a[8:9], 0  // 000000009748: D3F3001C 1A021148
	v_mfma_f32_16x16x32_fp8_fp8 v[28:31], a[74:75], a[10:11], v[28:31]// 000000009750: D3F3001C 1C72154A
	v_mfma_f32_16x16x32_fp8_fp8 v[28:31], a[76:77], a[12:13], v[28:31]// 000000009758: D3F3001C 1C72194C
	buffer_load_dwordx4 a[48:51], v229, s[12:15], 0 offen offset:3072// 000000009760: E05C1C00 808330E5
	v_mfma_f32_16x16x32_fp8_fp8 v[28:31], a[78:79], a[14:15], v[28:31]// 000000009768: D3F3001C 1C721D4E
	v_mfma_f32_16x16x32_fp8_fp8 v[32:35], a[80:81], a[8:9], 0  // 000000009770: D3F30020 1A021150
	v_mfma_f32_16x16x32_fp8_fp8 v[32:35], a[82:83], a[10:11], v[32:35]// 000000009778: D3F30020 1C821552
	v_mfma_f32_16x16x32_fp8_fp8 v[32:35], a[84:85], a[12:13], v[32:35]// 000000009780: D3F30020 1C821954
	buffer_load_dwordx4 a[52:55], v230, s[12:15], 0 offen offset:3072// 000000009788: E05C1C00 808334E6
	v_mfma_f32_16x16x32_fp8_fp8 v[32:35], a[86:87], a[14:15], v[32:35]// 000000009790: D3F30020 1C821D56
	v_mfma_f32_16x16x32_fp8_fp8 v[36:39], a[56:57], a[16:17], 0// 000000009798: D3F30024 1A022138
	v_mfma_f32_16x16x32_fp8_fp8 v[36:39], a[58:59], a[18:19], v[36:39]// 0000000097A0: D3F30024 1C92253A
	v_mfma_f32_16x16x32_fp8_fp8 v[36:39], a[60:61], a[20:21], v[36:39]// 0000000097A8: D3F30024 1C92293C
	v_mfma_f32_16x16x32_fp8_fp8 v[36:39], a[62:63], a[22:23], v[36:39]// 0000000097B0: D3F30024 1C922D3E
	v_mfma_f32_16x16x32_fp8_fp8 v[40:43], a[64:65], a[16:17], 0// 0000000097B8: D3F30028 1A022140
	v_mfma_f32_16x16x32_fp8_fp8 v[40:43], a[66:67], a[18:19], v[40:43]// 0000000097C0: D3F30028 1CA22542
	v_mfma_f32_16x16x32_fp8_fp8 v[40:43], a[68:69], a[20:21], v[40:43]// 0000000097C8: D3F30028 1CA22944
	v_mfma_f32_16x16x32_fp8_fp8 v[40:43], a[70:71], a[22:23], v[40:43]// 0000000097D0: D3F30028 1CA22D46
	v_mfma_f32_16x16x32_fp8_fp8 v[44:47], a[72:73], a[16:17], 0// 0000000097D8: D3F3002C 1A022148
	v_mfma_f32_16x16x32_fp8_fp8 v[44:47], a[74:75], a[18:19], v[44:47]// 0000000097E0: D3F3002C 1CB2254A
	v_mfma_f32_16x16x32_fp8_fp8 v[44:47], a[76:77], a[20:21], v[44:47]// 0000000097E8: D3F3002C 1CB2294C
	v_mfma_f32_16x16x32_fp8_fp8 v[44:47], a[78:79], a[22:23], v[44:47]// 0000000097F0: D3F3002C 1CB22D4E
	v_mfma_f32_16x16x32_fp8_fp8 v[48:51], a[80:81], a[16:17], 0// 0000000097F8: D3F30030 1A022150
	v_mfma_f32_16x16x32_fp8_fp8 v[48:51], a[82:83], a[18:19], v[48:51]// 000000009800: D3F30030 1CC22552
	v_mfma_f32_16x16x32_fp8_fp8 v[48:51], a[84:85], a[20:21], v[48:51]// 000000009808: D3F30030 1CC22954
	v_mfma_f32_16x16x32_fp8_fp8 v[48:51], a[86:87], a[22:23], v[48:51]// 000000009810: D3F30030 1CC22D56
	s_waitcnt vmcnt(16)                                        // 000000009818: BF8C4F70
	v_pk_mul_f32 v[4:5], v[148:149], v[4:5]                    // 00000000981C: D3B14004 18020994
	v_pk_mul_f32 v[6:7], v[148:149], v[6:7]                    // 000000009824: D3B14006 18020D94
	v_mul_f32_dpp v4, v155, v4 row_newbcast:0 row_mask:0xf bank_mask:0xf// 00000000982C: 0A0808FA FF01509B
	v_mul_f32_dpp v5, v155, v5 row_newbcast:1 row_mask:0xf bank_mask:0xf// 000000009834: 0A0A0AFA FF01519B
	v_mul_f32_dpp v6, v155, v6 row_newbcast:2 row_mask:0xf bank_mask:0xf// 00000000983C: 0A0C0CFA FF01529B
	v_mul_f32_dpp v7, v155, v7 row_newbcast:3 row_mask:0xf bank_mask:0xf// 000000009844: 0A0E0EFA FF01539B
	v_pk_mul_f32 v[8:9], v[148:149], v[8:9]                    // 00000000984C: D3B14008 18021194
	v_pk_mul_f32 v[10:11], v[148:149], v[10:11]                // 000000009854: D3B1400A 18021594
	v_mul_f32_dpp v8, v155, v8 row_newbcast:4 row_mask:0xf bank_mask:0xf// 00000000985C: 0A1010FA FF01549B
	v_mul_f32_dpp v9, v155, v9 row_newbcast:5 row_mask:0xf bank_mask:0xf// 000000009864: 0A1212FA FF01559B
	v_mul_f32_dpp v10, v155, v10 row_newbcast:6 row_mask:0xf bank_mask:0xf// 00000000986C: 0A1414FA FF01569B
	v_mul_f32_dpp v11, v155, v11 row_newbcast:7 row_mask:0xf bank_mask:0xf// 000000009874: 0A1616FA FF01579B
	v_pk_mul_f32 v[12:13], v[148:149], v[12:13]                // 00000000987C: D3B1400C 18021994
	v_pk_mul_f32 v[14:15], v[148:149], v[14:15]                // 000000009884: D3B1400E 18021D94
	v_mul_f32_dpp v12, v155, v12 row_newbcast:8 row_mask:0xf bank_mask:0xf// 00000000988C: 0A1818FA FF01589B
	v_mul_f32_dpp v13, v155, v13 row_newbcast:9 row_mask:0xf bank_mask:0xf// 000000009894: 0A1A1AFA FF01599B
	v_mul_f32_dpp v14, v155, v14 row_newbcast:10 row_mask:0xf bank_mask:0xf// 00000000989C: 0A1C1CFA FF015A9B
	v_mul_f32_dpp v15, v155, v15 row_newbcast:11 row_mask:0xf bank_mask:0xf// 0000000098A4: 0A1E1EFA FF015B9B
	v_pk_mul_f32 v[16:17], v[148:149], v[16:17]                // 0000000098AC: D3B14010 18022194
	v_pk_mul_f32 v[18:19], v[148:149], v[18:19]                // 0000000098B4: D3B14012 18022594
	v_mul_f32_dpp v16, v155, v16 row_newbcast:12 row_mask:0xf bank_mask:0xf// 0000000098BC: 0A2020FA FF015C9B
	v_mul_f32_dpp v17, v155, v17 row_newbcast:13 row_mask:0xf bank_mask:0xf// 0000000098C4: 0A2222FA FF015D9B
	v_mul_f32_dpp v18, v155, v18 row_newbcast:14 row_mask:0xf bank_mask:0xf// 0000000098CC: 0A2424FA FF015E9B
	v_mul_f32_dpp v19, v155, v19 row_newbcast:15 row_mask:0xf bank_mask:0xf// 0000000098D4: 0A2626FA FF015F9B
	v_pk_mul_f32 v[20:21], v[150:151], v[20:21]                // 0000000098DC: D3B14014 18022996
	v_pk_mul_f32 v[22:23], v[150:151], v[22:23]                // 0000000098E4: D3B14016 18022D96
	v_mul_f32_dpp v20, v155, v20 row_newbcast:0 row_mask:0xf bank_mask:0xf// 0000000098EC: 0A2828FA FF01509B
	v_mul_f32_dpp v21, v155, v21 row_newbcast:1 row_mask:0xf bank_mask:0xf// 0000000098F4: 0A2A2AFA FF01519B
	v_mul_f32_dpp v22, v155, v22 row_newbcast:2 row_mask:0xf bank_mask:0xf// 0000000098FC: 0A2C2CFA FF01529B
	v_mul_f32_dpp v23, v155, v23 row_newbcast:3 row_mask:0xf bank_mask:0xf// 000000009904: 0A2E2EFA FF01539B
	v_pk_mul_f32 v[24:25], v[150:151], v[24:25]                // 00000000990C: D3B14018 18023196
	v_pk_mul_f32 v[26:27], v[150:151], v[26:27]                // 000000009914: D3B1401A 18023596
	v_mul_f32_dpp v24, v155, v24 row_newbcast:4 row_mask:0xf bank_mask:0xf// 00000000991C: 0A3030FA FF01549B
	v_mul_f32_dpp v25, v155, v25 row_newbcast:5 row_mask:0xf bank_mask:0xf// 000000009924: 0A3232FA FF01559B
	v_mul_f32_dpp v26, v155, v26 row_newbcast:6 row_mask:0xf bank_mask:0xf// 00000000992C: 0A3434FA FF01569B
	v_mul_f32_dpp v27, v155, v27 row_newbcast:7 row_mask:0xf bank_mask:0xf// 000000009934: 0A3636FA FF01579B
	v_pk_mul_f32 v[28:29], v[150:151], v[28:29]                // 00000000993C: D3B1401C 18023996
	v_pk_mul_f32 v[30:31], v[150:151], v[30:31]                // 000000009944: D3B1401E 18023D96
	v_mul_f32_dpp v28, v155, v28 row_newbcast:8 row_mask:0xf bank_mask:0xf// 00000000994C: 0A3838FA FF01589B
	v_mul_f32_dpp v29, v155, v29 row_newbcast:9 row_mask:0xf bank_mask:0xf// 000000009954: 0A3A3AFA FF01599B
	v_mul_f32_dpp v30, v155, v30 row_newbcast:10 row_mask:0xf bank_mask:0xf// 00000000995C: 0A3C3CFA FF015A9B
	v_mul_f32_dpp v31, v155, v31 row_newbcast:11 row_mask:0xf bank_mask:0xf// 000000009964: 0A3E3EFA FF015B9B
	v_pk_mul_f32 v[32:33], v[150:151], v[32:33]                // 00000000996C: D3B14020 18024196
	v_pk_mul_f32 v[34:35], v[150:151], v[34:35]                // 000000009974: D3B14022 18024596
	v_mul_f32_dpp v32, v155, v32 row_newbcast:12 row_mask:0xf bank_mask:0xf// 00000000997C: 0A4040FA FF015C9B
	v_mul_f32_dpp v33, v155, v33 row_newbcast:13 row_mask:0xf bank_mask:0xf// 000000009984: 0A4242FA FF015D9B
	v_mul_f32_dpp v34, v155, v34 row_newbcast:14 row_mask:0xf bank_mask:0xf// 00000000998C: 0A4444FA FF015E9B
	v_mul_f32_dpp v35, v155, v35 row_newbcast:15 row_mask:0xf bank_mask:0xf// 000000009994: 0A4646FA FF015F9B
	v_pk_mul_f32 v[36:37], v[152:153], v[36:37]                // 00000000999C: D3B14024 18024998
	v_pk_mul_f32 v[38:39], v[152:153], v[38:39]                // 0000000099A4: D3B14026 18024D98
	v_mul_f32_dpp v36, v155, v36 row_newbcast:0 row_mask:0xf bank_mask:0xf// 0000000099AC: 0A4848FA FF01509B
	v_mul_f32_dpp v37, v155, v37 row_newbcast:1 row_mask:0xf bank_mask:0xf// 0000000099B4: 0A4A4AFA FF01519B
	v_mul_f32_dpp v38, v155, v38 row_newbcast:2 row_mask:0xf bank_mask:0xf// 0000000099BC: 0A4C4CFA FF01529B
	v_mul_f32_dpp v39, v155, v39 row_newbcast:3 row_mask:0xf bank_mask:0xf// 0000000099C4: 0A4E4EFA FF01539B
	v_pk_mul_f32 v[40:41], v[152:153], v[40:41]                // 0000000099CC: D3B14028 18025198
	v_pk_mul_f32 v[42:43], v[152:153], v[42:43]                // 0000000099D4: D3B1402A 18025598
	v_mul_f32_dpp v40, v155, v40 row_newbcast:4 row_mask:0xf bank_mask:0xf// 0000000099DC: 0A5050FA FF01549B
	v_mul_f32_dpp v41, v155, v41 row_newbcast:5 row_mask:0xf bank_mask:0xf// 0000000099E4: 0A5252FA FF01559B
	v_mul_f32_dpp v42, v155, v42 row_newbcast:6 row_mask:0xf bank_mask:0xf// 0000000099EC: 0A5454FA FF01569B
	v_mul_f32_dpp v43, v155, v43 row_newbcast:7 row_mask:0xf bank_mask:0xf// 0000000099F4: 0A5656FA FF01579B
	v_pk_mul_f32 v[44:45], v[152:153], v[44:45]                // 0000000099FC: D3B1402C 18025998
	v_pk_mul_f32 v[46:47], v[152:153], v[46:47]                // 000000009A04: D3B1402E 18025D98
	v_mul_f32_dpp v44, v155, v44 row_newbcast:8 row_mask:0xf bank_mask:0xf// 000000009A0C: 0A5858FA FF01589B
	v_mul_f32_dpp v45, v155, v45 row_newbcast:9 row_mask:0xf bank_mask:0xf// 000000009A14: 0A5A5AFA FF01599B
	v_mul_f32_dpp v46, v155, v46 row_newbcast:10 row_mask:0xf bank_mask:0xf// 000000009A1C: 0A5C5CFA FF015A9B
	v_mul_f32_dpp v47, v155, v47 row_newbcast:11 row_mask:0xf bank_mask:0xf// 000000009A24: 0A5E5EFA FF015B9B
	v_pk_mul_f32 v[48:49], v[152:153], v[48:49]                // 000000009A2C: D3B14030 18026198
	v_pk_mul_f32 v[50:51], v[152:153], v[50:51]                // 000000009A34: D3B14032 18026598
	v_mul_f32_dpp v48, v155, v48 row_newbcast:12 row_mask:0xf bank_mask:0xf// 000000009A3C: 0A6060FA FF015C9B
	v_mul_f32_dpp v49, v155, v49 row_newbcast:13 row_mask:0xf bank_mask:0xf// 000000009A44: 0A6262FA FF015D9B
	v_mul_f32_dpp v50, v155, v50 row_newbcast:14 row_mask:0xf bank_mask:0xf// 000000009A4C: 0A6464FA FF015E9B
	v_mul_f32_dpp v51, v155, v51 row_newbcast:15 row_mask:0xf bank_mask:0xf// 000000009A54: 0A6666FA FF015F9B
	v_add_u32_e32 v204, s64, v221                              // 000000009A5C: 6999BA40
	v_add_u32_e32 v205, 0, v204                                // 000000009A60: 699B9880
	v_cmp_lt_u32_e64 s[98:99], v205, v218                      // 000000009A64: D0C90062 0003B5CD
	s_nop 0                                                    // 000000009A6C: BF800000
	v_cndmask_b32_e64 v4, v222, v4, s[98:99]                   // 000000009A70: D1000004 018A09DE
	v_add_u32_e32 v205, 1, v204                                // 000000009A78: 699B9881
	v_cmp_lt_u32_e64 s[98:99], v205, v218                      // 000000009A7C: D0C90062 0003B5CD
	s_nop 0                                                    // 000000009A84: BF800000
	v_cndmask_b32_e64 v5, v222, v5, s[98:99]                   // 000000009A88: D1000005 018A0BDE
	v_add_u32_e32 v205, 2, v204                                // 000000009A90: 699B9882
	v_cmp_lt_u32_e64 s[98:99], v205, v218                      // 000000009A94: D0C90062 0003B5CD
	s_nop 0                                                    // 000000009A9C: BF800000
	v_cndmask_b32_e64 v6, v222, v6, s[98:99]                   // 000000009AA0: D1000006 018A0DDE
	v_add_u32_e32 v205, 3, v204                                // 000000009AA8: 699B9883
	v_cmp_lt_u32_e64 s[98:99], v205, v218                      // 000000009AAC: D0C90062 0003B5CD
	s_nop 0                                                    // 000000009AB4: BF800000
	v_cndmask_b32_e64 v7, v222, v7, s[98:99]                   // 000000009AB8: D1000007 018A0FDE
	v_add_u32_e32 v205, 64, v204                               // 000000009AC0: 699B98C0
	v_cmp_lt_u32_e64 s[98:99], v205, v218                      // 000000009AC4: D0C90062 0003B5CD
	s_nop 0                                                    // 000000009ACC: BF800000
	v_cndmask_b32_e64 v8, v222, v8, s[98:99]                   // 000000009AD0: D1000008 018A11DE
	v_add_u32_e32 v205, 0x41, v204                             // 000000009AD8: 699B98FF 00000041
	v_cmp_lt_u32_e64 s[98:99], v205, v218                      // 000000009AE0: D0C90062 0003B5CD
	s_nop 0                                                    // 000000009AE8: BF800000
	v_cndmask_b32_e64 v9, v222, v9, s[98:99]                   // 000000009AEC: D1000009 018A13DE
	v_add_u32_e32 v205, 0x42, v204                             // 000000009AF4: 699B98FF 00000042
	v_cmp_lt_u32_e64 s[98:99], v205, v218                      // 000000009AFC: D0C90062 0003B5CD
	s_nop 0                                                    // 000000009B04: BF800000
	v_cndmask_b32_e64 v10, v222, v10, s[98:99]                 // 000000009B08: D100000A 018A15DE
	v_add_u32_e32 v205, 0x43, v204                             // 000000009B10: 699B98FF 00000043
	v_cmp_lt_u32_e64 s[98:99], v205, v218                      // 000000009B18: D0C90062 0003B5CD
	s_nop 0                                                    // 000000009B20: BF800000
	v_cndmask_b32_e64 v11, v222, v11, s[98:99]                 // 000000009B24: D100000B 018A17DE
	v_add_u32_e32 v205, 0x80, v204                             // 000000009B2C: 699B98FF 00000080
	v_cmp_lt_u32_e64 s[98:99], v205, v218                      // 000000009B34: D0C90062 0003B5CD
	s_nop 0                                                    // 000000009B3C: BF800000
	v_cndmask_b32_e64 v12, v222, v12, s[98:99]                 // 000000009B40: D100000C 018A19DE
	v_add_u32_e32 v205, 0x81, v204                             // 000000009B48: 699B98FF 00000081
	v_cmp_lt_u32_e64 s[98:99], v205, v218                      // 000000009B50: D0C90062 0003B5CD
	s_nop 0                                                    // 000000009B58: BF800000
	v_cndmask_b32_e64 v13, v222, v13, s[98:99]                 // 000000009B5C: D100000D 018A1BDE
	v_add_u32_e32 v205, 0x82, v204                             // 000000009B64: 699B98FF 00000082
	v_cmp_lt_u32_e64 s[98:99], v205, v218                      // 000000009B6C: D0C90062 0003B5CD
	s_nop 0                                                    // 000000009B74: BF800000
	v_cndmask_b32_e64 v14, v222, v14, s[98:99]                 // 000000009B78: D100000E 018A1DDE
	v_add_u32_e32 v205, 0x83, v204                             // 000000009B80: 699B98FF 00000083
	v_cmp_lt_u32_e64 s[98:99], v205, v218                      // 000000009B88: D0C90062 0003B5CD
	s_nop 0                                                    // 000000009B90: BF800000
	v_cndmask_b32_e64 v15, v222, v15, s[98:99]                 // 000000009B94: D100000F 018A1FDE
	v_add_u32_e32 v205, 0xc0, v204                             // 000000009B9C: 699B98FF 000000C0
	v_cmp_lt_u32_e64 s[98:99], v205, v218                      // 000000009BA4: D0C90062 0003B5CD
	s_nop 0                                                    // 000000009BAC: BF800000
	v_cndmask_b32_e64 v16, v222, v16, s[98:99]                 // 000000009BB0: D1000010 018A21DE
	v_add_u32_e32 v205, 0xc1, v204                             // 000000009BB8: 699B98FF 000000C1
	v_cmp_lt_u32_e64 s[98:99], v205, v218                      // 000000009BC0: D0C90062 0003B5CD
	s_nop 0                                                    // 000000009BC8: BF800000
	v_cndmask_b32_e64 v17, v222, v17, s[98:99]                 // 000000009BCC: D1000011 018A23DE
	v_add_u32_e32 v205, 0xc2, v204                             // 000000009BD4: 699B98FF 000000C2
	v_cmp_lt_u32_e64 s[98:99], v205, v218                      // 000000009BDC: D0C90062 0003B5CD
	s_nop 0                                                    // 000000009BE4: BF800000
	v_cndmask_b32_e64 v18, v222, v18, s[98:99]                 // 000000009BE8: D1000012 018A25DE
	v_add_u32_e32 v205, 0xc3, v204                             // 000000009BF0: 699B98FF 000000C3
	v_cmp_lt_u32_e64 s[98:99], v205, v218                      // 000000009BF8: D0C90062 0003B5CD
	s_nop 0                                                    // 000000009C00: BF800000
	v_cndmask_b32_e64 v19, v222, v19, s[98:99]                 // 000000009C04: D1000013 018A27DE
	v_add_u32_e32 v205, 0, v204                                // 000000009C0C: 699B9880
	v_cmp_lt_u32_e64 s[98:99], v205, v219                      // 000000009C10: D0C90062 0003B7CD
	s_nop 0                                                    // 000000009C18: BF800000
	v_cndmask_b32_e64 v20, v222, v20, s[98:99]                 // 000000009C1C: D1000014 018A29DE
	v_add_u32_e32 v205, 1, v204                                // 000000009C24: 699B9881
	v_cmp_lt_u32_e64 s[98:99], v205, v219                      // 000000009C28: D0C90062 0003B7CD
	s_nop 0                                                    // 000000009C30: BF800000
	v_cndmask_b32_e64 v21, v222, v21, s[98:99]                 // 000000009C34: D1000015 018A2BDE
	v_add_u32_e32 v205, 2, v204                                // 000000009C3C: 699B9882
	v_cmp_lt_u32_e64 s[98:99], v205, v219                      // 000000009C40: D0C90062 0003B7CD
	s_nop 0                                                    // 000000009C48: BF800000
	v_cndmask_b32_e64 v22, v222, v22, s[98:99]                 // 000000009C4C: D1000016 018A2DDE
	v_add_u32_e32 v205, 3, v204                                // 000000009C54: 699B9883
	v_cmp_lt_u32_e64 s[98:99], v205, v219                      // 000000009C58: D0C90062 0003B7CD
	s_nop 0                                                    // 000000009C60: BF800000
	v_cndmask_b32_e64 v23, v222, v23, s[98:99]                 // 000000009C64: D1000017 018A2FDE
	v_add_u32_e32 v205, 64, v204                               // 000000009C6C: 699B98C0
	v_cmp_lt_u32_e64 s[98:99], v205, v219                      // 000000009C70: D0C90062 0003B7CD
	s_nop 0                                                    // 000000009C78: BF800000
	v_cndmask_b32_e64 v24, v222, v24, s[98:99]                 // 000000009C7C: D1000018 018A31DE
	v_add_u32_e32 v205, 0x41, v204                             // 000000009C84: 699B98FF 00000041
	v_cmp_lt_u32_e64 s[98:99], v205, v219                      // 000000009C8C: D0C90062 0003B7CD
	s_nop 0                                                    // 000000009C94: BF800000
	v_cndmask_b32_e64 v25, v222, v25, s[98:99]                 // 000000009C98: D1000019 018A33DE
	v_add_u32_e32 v205, 0x42, v204                             // 000000009CA0: 699B98FF 00000042
	v_cmp_lt_u32_e64 s[98:99], v205, v219                      // 000000009CA8: D0C90062 0003B7CD
	s_nop 0                                                    // 000000009CB0: BF800000
	v_cndmask_b32_e64 v26, v222, v26, s[98:99]                 // 000000009CB4: D100001A 018A35DE
	v_add_u32_e32 v205, 0x43, v204                             // 000000009CBC: 699B98FF 00000043
	v_cmp_lt_u32_e64 s[98:99], v205, v219                      // 000000009CC4: D0C90062 0003B7CD
	s_nop 0                                                    // 000000009CCC: BF800000
	v_cndmask_b32_e64 v27, v222, v27, s[98:99]                 // 000000009CD0: D100001B 018A37DE
	v_add_u32_e32 v205, 0x80, v204                             // 000000009CD8: 699B98FF 00000080
	v_cmp_lt_u32_e64 s[98:99], v205, v219                      // 000000009CE0: D0C90062 0003B7CD
	s_nop 0                                                    // 000000009CE8: BF800000
	v_cndmask_b32_e64 v28, v222, v28, s[98:99]                 // 000000009CEC: D100001C 018A39DE
	v_add_u32_e32 v205, 0x81, v204                             // 000000009CF4: 699B98FF 00000081
	v_cmp_lt_u32_e64 s[98:99], v205, v219                      // 000000009CFC: D0C90062 0003B7CD
	s_nop 0                                                    // 000000009D04: BF800000
	v_cndmask_b32_e64 v29, v222, v29, s[98:99]                 // 000000009D08: D100001D 018A3BDE
	v_add_u32_e32 v205, 0x82, v204                             // 000000009D10: 699B98FF 00000082
	v_cmp_lt_u32_e64 s[98:99], v205, v219                      // 000000009D18: D0C90062 0003B7CD
	s_nop 0                                                    // 000000009D20: BF800000
	v_cndmask_b32_e64 v30, v222, v30, s[98:99]                 // 000000009D24: D100001E 018A3DDE
	v_add_u32_e32 v205, 0x83, v204                             // 000000009D2C: 699B98FF 00000083
	v_cmp_lt_u32_e64 s[98:99], v205, v219                      // 000000009D34: D0C90062 0003B7CD
	s_nop 0                                                    // 000000009D3C: BF800000
	v_cndmask_b32_e64 v31, v222, v31, s[98:99]                 // 000000009D40: D100001F 018A3FDE
	v_add_u32_e32 v205, 0xc0, v204                             // 000000009D48: 699B98FF 000000C0
	v_cmp_lt_u32_e64 s[98:99], v205, v219                      // 000000009D50: D0C90062 0003B7CD
	s_nop 0                                                    // 000000009D58: BF800000
	v_cndmask_b32_e64 v32, v222, v32, s[98:99]                 // 000000009D5C: D1000020 018A41DE
	v_add_u32_e32 v205, 0xc1, v204                             // 000000009D64: 699B98FF 000000C1
	v_cmp_lt_u32_e64 s[98:99], v205, v219                      // 000000009D6C: D0C90062 0003B7CD
	s_nop 0                                                    // 000000009D74: BF800000
	v_cndmask_b32_e64 v33, v222, v33, s[98:99]                 // 000000009D78: D1000021 018A43DE
	v_add_u32_e32 v205, 0xc2, v204                             // 000000009D80: 699B98FF 000000C2
	v_cmp_lt_u32_e64 s[98:99], v205, v219                      // 000000009D88: D0C90062 0003B7CD
	s_nop 0                                                    // 000000009D90: BF800000
	v_cndmask_b32_e64 v34, v222, v34, s[98:99]                 // 000000009D94: D1000022 018A45DE
	v_add_u32_e32 v205, 0xc3, v204                             // 000000009D9C: 699B98FF 000000C3
	v_cmp_lt_u32_e64 s[98:99], v205, v219                      // 000000009DA4: D0C90062 0003B7CD
	s_nop 0                                                    // 000000009DAC: BF800000
	v_cndmask_b32_e64 v35, v222, v35, s[98:99]                 // 000000009DB0: D1000023 018A47DE
	v_add_u32_e32 v205, 0, v204                                // 000000009DB8: 699B9880
	v_cmp_lt_u32_e64 s[98:99], v205, v220                      // 000000009DBC: D0C90062 0003B9CD
	s_nop 0                                                    // 000000009DC4: BF800000
	v_cndmask_b32_e64 v36, v222, v36, s[98:99]                 // 000000009DC8: D1000024 018A49DE
	v_add_u32_e32 v205, 1, v204                                // 000000009DD0: 699B9881
	v_cmp_lt_u32_e64 s[98:99], v205, v220                      // 000000009DD4: D0C90062 0003B9CD
	s_nop 0                                                    // 000000009DDC: BF800000
	v_cndmask_b32_e64 v37, v222, v37, s[98:99]                 // 000000009DE0: D1000025 018A4BDE
	v_add_u32_e32 v205, 2, v204                                // 000000009DE8: 699B9882
	v_cmp_lt_u32_e64 s[98:99], v205, v220                      // 000000009DEC: D0C90062 0003B9CD
	s_nop 0                                                    // 000000009DF4: BF800000
	v_cndmask_b32_e64 v38, v222, v38, s[98:99]                 // 000000009DF8: D1000026 018A4DDE
	v_add_u32_e32 v205, 3, v204                                // 000000009E00: 699B9883
	v_cmp_lt_u32_e64 s[98:99], v205, v220                      // 000000009E04: D0C90062 0003B9CD
	s_nop 0                                                    // 000000009E0C: BF800000
	v_cndmask_b32_e64 v39, v222, v39, s[98:99]                 // 000000009E10: D1000027 018A4FDE
	v_add_u32_e32 v205, 64, v204                               // 000000009E18: 699B98C0
	v_cmp_lt_u32_e64 s[98:99], v205, v220                      // 000000009E1C: D0C90062 0003B9CD
	s_nop 0                                                    // 000000009E24: BF800000
	v_cndmask_b32_e64 v40, v222, v40, s[98:99]                 // 000000009E28: D1000028 018A51DE
	v_add_u32_e32 v205, 0x41, v204                             // 000000009E30: 699B98FF 00000041
	v_cmp_lt_u32_e64 s[98:99], v205, v220                      // 000000009E38: D0C90062 0003B9CD
	s_nop 0                                                    // 000000009E40: BF800000
	v_cndmask_b32_e64 v41, v222, v41, s[98:99]                 // 000000009E44: D1000029 018A53DE
	v_add_u32_e32 v205, 0x42, v204                             // 000000009E4C: 699B98FF 00000042
	v_cmp_lt_u32_e64 s[98:99], v205, v220                      // 000000009E54: D0C90062 0003B9CD
	s_nop 0                                                    // 000000009E5C: BF800000
	v_cndmask_b32_e64 v42, v222, v42, s[98:99]                 // 000000009E60: D100002A 018A55DE
	v_add_u32_e32 v205, 0x43, v204                             // 000000009E68: 699B98FF 00000043
	v_cmp_lt_u32_e64 s[98:99], v205, v220                      // 000000009E70: D0C90062 0003B9CD
	s_nop 0                                                    // 000000009E78: BF800000
	v_cndmask_b32_e64 v43, v222, v43, s[98:99]                 // 000000009E7C: D100002B 018A57DE
	v_add_u32_e32 v205, 0x80, v204                             // 000000009E84: 699B98FF 00000080
	v_cmp_lt_u32_e64 s[98:99], v205, v220                      // 000000009E8C: D0C90062 0003B9CD
	s_nop 0                                                    // 000000009E94: BF800000
	v_cndmask_b32_e64 v44, v222, v44, s[98:99]                 // 000000009E98: D100002C 018A59DE
	v_add_u32_e32 v205, 0x81, v204                             // 000000009EA0: 699B98FF 00000081
	v_cmp_lt_u32_e64 s[98:99], v205, v220                      // 000000009EA8: D0C90062 0003B9CD
	s_nop 0                                                    // 000000009EB0: BF800000
	v_cndmask_b32_e64 v45, v222, v45, s[98:99]                 // 000000009EB4: D100002D 018A5BDE
	v_add_u32_e32 v205, 0x82, v204                             // 000000009EBC: 699B98FF 00000082
	v_cmp_lt_u32_e64 s[98:99], v205, v220                      // 000000009EC4: D0C90062 0003B9CD
	s_nop 0                                                    // 000000009ECC: BF800000
	v_cndmask_b32_e64 v46, v222, v46, s[98:99]                 // 000000009ED0: D100002E 018A5DDE
	v_add_u32_e32 v205, 0x83, v204                             // 000000009ED8: 699B98FF 00000083
	v_cmp_lt_u32_e64 s[98:99], v205, v220                      // 000000009EE0: D0C90062 0003B9CD
	s_nop 0                                                    // 000000009EE8: BF800000
	v_cndmask_b32_e64 v47, v222, v47, s[98:99]                 // 000000009EEC: D100002F 018A5FDE
	v_add_u32_e32 v205, 0xc0, v204                             // 000000009EF4: 699B98FF 000000C0
	v_cmp_lt_u32_e64 s[98:99], v205, v220                      // 000000009EFC: D0C90062 0003B9CD
	s_nop 0                                                    // 000000009F04: BF800000
	v_cndmask_b32_e64 v48, v222, v48, s[98:99]                 // 000000009F08: D1000030 018A61DE
	v_add_u32_e32 v205, 0xc1, v204                             // 000000009F10: 699B98FF 000000C1
	v_cmp_lt_u32_e64 s[98:99], v205, v220                      // 000000009F18: D0C90062 0003B9CD
	s_nop 0                                                    // 000000009F20: BF800000
	v_cndmask_b32_e64 v49, v222, v49, s[98:99]                 // 000000009F24: D1000031 018A63DE
	v_add_u32_e32 v205, 0xc2, v204                             // 000000009F2C: 699B98FF 000000C2
	v_cmp_lt_u32_e64 s[98:99], v205, v220                      // 000000009F34: D0C90062 0003B9CD
	s_nop 0                                                    // 000000009F3C: BF800000
	v_cndmask_b32_e64 v50, v222, v50, s[98:99]                 // 000000009F40: D1000032 018A65DE
	v_add_u32_e32 v205, 0xc3, v204                             // 000000009F48: 699B98FF 000000C3
	v_cmp_lt_u32_e64 s[98:99], v205, v220                      // 000000009F50: D0C90062 0003B9CD
	s_nop 0                                                    // 000000009F58: BF800000
	v_cndmask_b32_e64 v51, v222, v51, s[98:99]                 // 000000009F5C: D1000033 018A67DE
	v_mov_b32_e32 v182, v4                                     // 000000009F64: 7F6C0304
	v_max3_f32 v182, v4, v5, v182                              // 000000009F68: D1D300B6 06DA0B04
	v_max3_f32 v182, v6, v7, v182                              // 000000009F70: D1D300B6 06DA0F06
	v_max3_f32 v182, v8, v9, v182                              // 000000009F78: D1D300B6 06DA1308
	v_max3_f32 v182, v10, v11, v182                            // 000000009F80: D1D300B6 06DA170A
	v_max3_f32 v182, v12, v13, v182                            // 000000009F88: D1D300B6 06DA1B0C
	v_max3_f32 v182, v14, v15, v182                            // 000000009F90: D1D300B6 06DA1F0E
	v_max3_f32 v182, v16, v17, v182                            // 000000009F98: D1D300B6 06DA2310
	v_max3_f32 v182, v18, v19, v182                            // 000000009FA0: D1D300B6 06DA2712
	v_mov_b32_e32 v183, v20                                    // 000000009FA8: 7F6E0314
	v_max3_f32 v183, v20, v21, v183                            // 000000009FAC: D1D300B7 06DE2B14
	v_max3_f32 v183, v22, v23, v183                            // 000000009FB4: D1D300B7 06DE2F16
	v_max3_f32 v183, v24, v25, v183                            // 000000009FBC: D1D300B7 06DE3318
	v_max3_f32 v183, v26, v27, v183                            // 000000009FC4: D1D300B7 06DE371A
	v_max3_f32 v183, v28, v29, v183                            // 000000009FCC: D1D300B7 06DE3B1C
	v_max3_f32 v183, v30, v31, v183                            // 000000009FD4: D1D300B7 06DE3F1E
	v_max3_f32 v183, v32, v33, v183                            // 000000009FDC: D1D300B7 06DE4320
	v_max3_f32 v183, v34, v35, v183                            // 000000009FE4: D1D300B7 06DE4722
	v_mov_b32_e32 v184, v36                                    // 000000009FEC: 7F700324
	v_max3_f32 v184, v36, v37, v184                            // 000000009FF0: D1D300B8 06E24B24
	v_max3_f32 v184, v38, v39, v184                            // 000000009FF8: D1D300B8 06E24F26
	v_max3_f32 v184, v40, v41, v184                            // 00000000A000: D1D300B8 06E25328
	v_max3_f32 v184, v42, v43, v184                            // 00000000A008: D1D300B8 06E2572A
	v_max3_f32 v184, v44, v45, v184                            // 00000000A010: D1D300B8 06E25B2C
	v_max3_f32 v184, v46, v47, v184                            // 00000000A018: D1D300B8 06E25F2E
	v_max3_f32 v184, v48, v49, v184                            // 00000000A020: D1D300B8 06E26330
	v_max3_f32 v184, v50, v51, v184                            // 00000000A028: D1D300B8 06E26732
	ds_bpermute_b32 v188, v208, v182                           // 00000000A030: D87E0000 BC00B6D0
	ds_bpermute_b32 v189, v209, v182                           // 00000000A038: D87E0000 BD00B6D1
	ds_bpermute_b32 v190, v210, v182                           // 00000000A040: D87E0000 BE00B6D2
	ds_bpermute_b32 v191, v208, v183                           // 00000000A048: D87E0000 BF00B7D0
	ds_bpermute_b32 v192, v209, v183                           // 00000000A050: D87E0000 C000B7D1
	ds_bpermute_b32 v193, v210, v183                           // 00000000A058: D87E0000 C100B7D2
	ds_bpermute_b32 v194, v208, v184                           // 00000000A060: D87E0000 C200B8D0
	ds_bpermute_b32 v195, v209, v184                           // 00000000A068: D87E0000 C300B8D1
	ds_bpermute_b32 v196, v210, v184                           // 00000000A070: D87E0000 C400B8D2
	v_pk_mul_f32 v[124:125], v[170:171], v[124:125]            // 00000000A078: D3B1407C 1802F9AA
	v_pk_mul_f32 v[126:127], v[170:171], v[126:127]            // 00000000A080: D3B1407E 1802FDAA
	v_pk_mul_f32 v[128:129], v[170:171], v[128:129]            // 00000000A088: D3B14080 180301AA
	v_pk_mul_f32 v[130:131], v[170:171], v[130:131]            // 00000000A090: D3B14082 180305AA
	v_pk_mul_f32 v[132:133], v[172:173], v[132:133]            // 00000000A098: D3B14084 180309AC
	v_pk_mul_f32 v[134:135], v[172:173], v[134:135]            // 00000000A0A0: D3B14086 18030DAC
	v_pk_mul_f32 v[136:137], v[172:173], v[136:137]            // 00000000A0A8: D3B14088 180311AC
	v_pk_mul_f32 v[138:139], v[172:173], v[138:139]            // 00000000A0B0: D3B1408A 180315AC
	v_pk_mul_f32 v[140:141], v[174:175], v[140:141]            // 00000000A0B8: D3B1408C 180319AE
	v_pk_mul_f32 v[142:143], v[174:175], v[142:143]            // 00000000A0C0: D3B1408E 18031DAE
	v_pk_mul_f32 v[144:145], v[174:175], v[144:145]            // 00000000A0C8: D3B14090 180321AE
	v_pk_mul_f32 v[146:147], v[174:175], v[146:147]            // 00000000A0D0: D3B14092 180325AE
	s_waitcnt lgkmcnt(6)                                       // 00000000A0D8: BF8CC67F
	v_max3_f32 v182, v188, v189, v182                          // 00000000A0DC: D1D300B6 06DB7BBC
	v_max_f32_e32 v182, v190, v182                             // 00000000A0E4: 176D6DBE
	s_waitcnt lgkmcnt(3)                                       // 00000000A0E8: BF8CC37F
	v_max3_f32 v183, v191, v192, v183                          // 00000000A0EC: D1D300B7 06DF81BF
	v_max_f32_e32 v183, v193, v183                             // 00000000A0F4: 176F6FC1
	s_waitcnt lgkmcnt(0)                                       // 00000000A0F8: BF8CC07F
	v_max3_f32 v184, v194, v195, v184                          // 00000000A0FC: D1D300B8 06E387C2
	v_max_f32_e32 v184, v196, v184                             // 00000000A104: 177171C4
	ds_write_b128 v249, v[182:185]                             // 00000000A108: D9BE0000 0000B6F9
	s_waitcnt lgkmcnt(0)                                       // 00000000A110: BF8CC07F
	s_barrier                                                  // 00000000A114: BF8A0000
	ds_read_b128 v[188:191], v250                              // 00000000A118: D9FE0000 BC0000FA
	ds_read_b128 v[192:195], v250 offset:256                   // 00000000A120: D9FE0100 C00000FA
	ds_read_b128 v[196:199], v250 offset:512                   // 00000000A128: D9FE0200 C40000FA
	ds_read_b128 v[200:203], v250 offset:768                   // 00000000A130: D9FE0300 C80000FA
	v_pk_mul_f32 v[100:101], v[158:159], v[100:101]            // 00000000A138: D3B14064 1802C99E
	v_pk_mul_f32 v[102:103], v[158:159], v[102:103]            // 00000000A140: D3B14066 1802CD9E
	v_pk_mul_f32 v[104:105], v[158:159], v[104:105]            // 00000000A148: D3B14068 1802D19E
	v_pk_mul_f32 v[106:107], v[158:159], v[106:107]            // 00000000A150: D3B1406A 1802D59E
	v_pk_mul_f32 v[108:109], v[160:161], v[108:109]            // 00000000A158: D3B1406C 1802D9A0
	v_pk_mul_f32 v[110:111], v[160:161], v[110:111]            // 00000000A160: D3B1406E 1802DDA0
	v_pk_mul_f32 v[112:113], v[160:161], v[112:113]            // 00000000A168: D3B14070 1802E1A0
	v_pk_mul_f32 v[114:115], v[160:161], v[114:115]            // 00000000A170: D3B14072 1802E5A0
	v_pk_mul_f32 v[116:117], v[162:163], v[116:117]            // 00000000A178: D3B14074 1802E9A2
	v_pk_mul_f32 v[118:119], v[162:163], v[118:119]            // 00000000A180: D3B14076 1802EDA2
	v_pk_mul_f32 v[120:121], v[162:163], v[120:121]            // 00000000A188: D3B14078 1802F1A2
	v_pk_mul_f32 v[122:123], v[162:163], v[122:123]            // 00000000A190: D3B1407A 1802F5A2
	s_waitcnt lgkmcnt(0)                                       // 00000000A198: BF8CC07F
	v_max3_f32 v182, v188, v192, v182                          // 00000000A19C: D1D300B6 06DB81BC
	v_max3_f32 v183, v189, v193, v183                          // 00000000A1A4: D1D300B7 06DF83BD
	v_max3_f32 v184, v190, v194, v184                          // 00000000A1AC: D1D300B8 06E385BE
	v_max3_f32 v182, v196, v200, v182                          // 00000000A1B4: D1D300B6 06DB91C4
	v_max3_f32 v183, v197, v201, v183                          // 00000000A1BC: D1D300B7 06DF93C5
	v_max3_f32 v184, v198, v202, v184                          // 00000000A1C4: D1D300B8 06E395C6
	v_max_f32_e32 v167, v182, v164                             // 00000000A1CC: 174F49B6
	v_mul_f32_e64 v204, -s46, v167                             // 00000000A1D0: D10500CC 20034E2E
	v_mov_b32_e32 v205, v204                                   // 00000000A1D8: 7F9A03CC
	v_pk_fma_f32 v[4:5], v[4:5], s[46:47], v[204:205]          // 00000000A1DC: D3B04004 1F305D04
	v_pk_fma_f32 v[6:7], v[6:7], s[46:47], v[204:205]          // 00000000A1E4: D3B04006 1F305D06
	v_exp_f32_e32 v4, v4                                       // 00000000A1EC: 7E084104
	v_exp_f32_e32 v5, v5                                       // 00000000A1F0: 7E0A4105
	v_exp_f32_e32 v6, v6                                       // 00000000A1F4: 7E0C4106
	v_exp_f32_e32 v7, v7                                       // 00000000A1F8: 7E0E4107
	v_pk_fma_f32 v[8:9], v[8:9], s[46:47], v[204:205]          // 00000000A1FC: D3B04008 1F305D08
	v_pk_fma_f32 v[10:11], v[10:11], s[46:47], v[204:205]      // 00000000A204: D3B0400A 1F305D0A
	v_exp_f32_e32 v8, v8                                       // 00000000A20C: 7E104108
	v_exp_f32_e32 v9, v9                                       // 00000000A210: 7E124109
	v_exp_f32_e32 v10, v10                                     // 00000000A214: 7E14410A
	v_exp_f32_e32 v11, v11                                     // 00000000A218: 7E16410B
	v_pk_fma_f32 v[12:13], v[12:13], s[46:47], v[204:205]      // 00000000A21C: D3B0400C 1F305D0C
	v_pk_fma_f32 v[14:15], v[14:15], s[46:47], v[204:205]      // 00000000A224: D3B0400E 1F305D0E
	v_exp_f32_e32 v12, v12                                     // 00000000A22C: 7E18410C
	v_exp_f32_e32 v13, v13                                     // 00000000A230: 7E1A410D
	v_exp_f32_e32 v14, v14                                     // 00000000A234: 7E1C410E
	v_exp_f32_e32 v15, v15                                     // 00000000A238: 7E1E410F
	v_pk_fma_f32 v[16:17], v[16:17], s[46:47], v[204:205]      // 00000000A23C: D3B04010 1F305D10
	v_pk_fma_f32 v[18:19], v[18:19], s[46:47], v[204:205]      // 00000000A244: D3B04012 1F305D12
	v_exp_f32_e32 v16, v16                                     // 00000000A24C: 7E204110
	v_exp_f32_e32 v17, v17                                     // 00000000A250: 7E224111
	v_exp_f32_e32 v18, v18                                     // 00000000A254: 7E244112
	v_exp_f32_e32 v19, v19                                     // 00000000A258: 7E264113
	v_max_f32_e32 v168, v183, v165                             // 00000000A25C: 17514BB7
	v_mul_f32_e64 v204, -s46, v168                             // 00000000A260: D10500CC 2003502E
	v_mov_b32_e32 v205, v204                                   // 00000000A268: 7F9A03CC
	v_pk_fma_f32 v[20:21], v[20:21], s[46:47], v[204:205]      // 00000000A26C: D3B04014 1F305D14
	v_pk_fma_f32 v[22:23], v[22:23], s[46:47], v[204:205]      // 00000000A274: D3B04016 1F305D16
	v_exp_f32_e32 v20, v20                                     // 00000000A27C: 7E284114
	v_exp_f32_e32 v21, v21                                     // 00000000A280: 7E2A4115
	v_exp_f32_e32 v22, v22                                     // 00000000A284: 7E2C4116
	v_exp_f32_e32 v23, v23                                     // 00000000A288: 7E2E4117
	v_pk_fma_f32 v[24:25], v[24:25], s[46:47], v[204:205]      // 00000000A28C: D3B04018 1F305D18
	v_pk_fma_f32 v[26:27], v[26:27], s[46:47], v[204:205]      // 00000000A294: D3B0401A 1F305D1A
	v_exp_f32_e32 v24, v24                                     // 00000000A29C: 7E304118
	v_exp_f32_e32 v25, v25                                     // 00000000A2A0: 7E324119
	v_exp_f32_e32 v26, v26                                     // 00000000A2A4: 7E34411A
	v_exp_f32_e32 v27, v27                                     // 00000000A2A8: 7E36411B
	v_pk_fma_f32 v[28:29], v[28:29], s[46:47], v[204:205]      // 00000000A2AC: D3B0401C 1F305D1C
	v_pk_fma_f32 v[30:31], v[30:31], s[46:47], v[204:205]      // 00000000A2B4: D3B0401E 1F305D1E
	v_exp_f32_e32 v28, v28                                     // 00000000A2BC: 7E38411C
	v_exp_f32_e32 v29, v29                                     // 00000000A2C0: 7E3A411D
	v_exp_f32_e32 v30, v30                                     // 00000000A2C4: 7E3C411E
	v_exp_f32_e32 v31, v31                                     // 00000000A2C8: 7E3E411F
	v_pk_fma_f32 v[32:33], v[32:33], s[46:47], v[204:205]      // 00000000A2CC: D3B04020 1F305D20
	v_pk_fma_f32 v[34:35], v[34:35], s[46:47], v[204:205]      // 00000000A2D4: D3B04022 1F305D22
	v_exp_f32_e32 v32, v32                                     // 00000000A2DC: 7E404120
	v_exp_f32_e32 v33, v33                                     // 00000000A2E0: 7E424121
	v_exp_f32_e32 v34, v34                                     // 00000000A2E4: 7E444122
	v_exp_f32_e32 v35, v35                                     // 00000000A2E8: 7E464123
	v_max_f32_e32 v169, v184, v166                             // 00000000A2EC: 17534DB8
	v_mul_f32_e64 v204, -s46, v169                             // 00000000A2F0: D10500CC 2003522E
	v_mov_b32_e32 v205, v204                                   // 00000000A2F8: 7F9A03CC
	v_pk_fma_f32 v[36:37], v[36:37], s[46:47], v[204:205]      // 00000000A2FC: D3B04024 1F305D24
	v_pk_fma_f32 v[38:39], v[38:39], s[46:47], v[204:205]      // 00000000A304: D3B04026 1F305D26
	v_exp_f32_e32 v36, v36                                     // 00000000A30C: 7E484124
	v_exp_f32_e32 v37, v37                                     // 00000000A310: 7E4A4125
	v_exp_f32_e32 v38, v38                                     // 00000000A314: 7E4C4126
	v_exp_f32_e32 v39, v39                                     // 00000000A318: 7E4E4127
	v_pk_fma_f32 v[40:41], v[40:41], s[46:47], v[204:205]      // 00000000A31C: D3B04028 1F305D28
	v_pk_fma_f32 v[42:43], v[42:43], s[46:47], v[204:205]      // 00000000A324: D3B0402A 1F305D2A
	v_exp_f32_e32 v40, v40                                     // 00000000A32C: 7E504128
	v_exp_f32_e32 v41, v41                                     // 00000000A330: 7E524129
	v_exp_f32_e32 v42, v42                                     // 00000000A334: 7E54412A
	v_exp_f32_e32 v43, v43                                     // 00000000A338: 7E56412B
	v_pk_fma_f32 v[44:45], v[44:45], s[46:47], v[204:205]      // 00000000A33C: D3B0402C 1F305D2C
	v_pk_fma_f32 v[46:47], v[46:47], s[46:47], v[204:205]      // 00000000A344: D3B0402E 1F305D2E
	v_exp_f32_e32 v44, v44                                     // 00000000A34C: 7E58412C
	v_exp_f32_e32 v45, v45                                     // 00000000A350: 7E5A412D
	v_exp_f32_e32 v46, v46                                     // 00000000A354: 7E5C412E
	v_exp_f32_e32 v47, v47                                     // 00000000A358: 7E5E412F
	v_pk_fma_f32 v[48:49], v[48:49], s[46:47], v[204:205]      // 00000000A35C: D3B04030 1F305D30
	v_pk_fma_f32 v[50:51], v[50:51], s[46:47], v[204:205]      // 00000000A364: D3B04032 1F305D32
	v_exp_f32_e32 v48, v48                                     // 00000000A36C: 7E604130
	v_exp_f32_e32 v49, v49                                     // 00000000A370: 7E624131
	v_exp_f32_e32 v50, v50                                     // 00000000A374: 7E644132
	v_exp_f32_e32 v51, v51                                     // 00000000A378: 7E664133
	v_mul_f32_dpp v52, v157, v4 row_newbcast:0 row_mask:0xf bank_mask:0xf// 00000000A37C: 0A6808FA FF01509D
	v_mul_f32_dpp v53, v157, v5 row_newbcast:1 row_mask:0xf bank_mask:0xf// 00000000A384: 0A6A0AFA FF01519D
	v_mul_f32_dpp v54, v157, v6 row_newbcast:2 row_mask:0xf bank_mask:0xf// 00000000A38C: 0A6C0CFA FF01529D
	v_mul_f32_dpp v55, v157, v7 row_newbcast:3 row_mask:0xf bank_mask:0xf// 00000000A394: 0A6E0EFA FF01539D
	v_mul_f32_dpp v56, v157, v8 row_newbcast:4 row_mask:0xf bank_mask:0xf// 00000000A39C: 0A7010FA FF01549D
	v_mul_f32_dpp v57, v157, v9 row_newbcast:5 row_mask:0xf bank_mask:0xf// 00000000A3A4: 0A7212FA FF01559D
	v_mul_f32_dpp v58, v157, v10 row_newbcast:6 row_mask:0xf bank_mask:0xf// 00000000A3AC: 0A7414FA FF01569D
	v_mul_f32_dpp v59, v157, v11 row_newbcast:7 row_mask:0xf bank_mask:0xf// 00000000A3B4: 0A7616FA FF01579D
	v_mul_f32_dpp v60, v157, v12 row_newbcast:8 row_mask:0xf bank_mask:0xf// 00000000A3BC: 0A7818FA FF01589D
	v_mul_f32_dpp v61, v157, v13 row_newbcast:9 row_mask:0xf bank_mask:0xf// 00000000A3C4: 0A7A1AFA FF01599D
	v_mul_f32_dpp v62, v157, v14 row_newbcast:10 row_mask:0xf bank_mask:0xf// 00000000A3CC: 0A7C1CFA FF015A9D
	v_mul_f32_dpp v63, v157, v15 row_newbcast:11 row_mask:0xf bank_mask:0xf// 00000000A3D4: 0A7E1EFA FF015B9D
	v_mul_f32_dpp v64, v157, v16 row_newbcast:12 row_mask:0xf bank_mask:0xf// 00000000A3DC: 0A8020FA FF015C9D
	v_mul_f32_dpp v65, v157, v17 row_newbcast:13 row_mask:0xf bank_mask:0xf// 00000000A3E4: 0A8222FA FF015D9D
	v_mul_f32_dpp v66, v157, v18 row_newbcast:14 row_mask:0xf bank_mask:0xf// 00000000A3EC: 0A8424FA FF015E9D
	v_mul_f32_dpp v67, v157, v19 row_newbcast:15 row_mask:0xf bank_mask:0xf// 00000000A3F4: 0A8626FA FF015F9D
	v_mul_f32_dpp v68, v157, v20 row_newbcast:0 row_mask:0xf bank_mask:0xf// 00000000A3FC: 0A8828FA FF01509D
	v_mul_f32_dpp v69, v157, v21 row_newbcast:1 row_mask:0xf bank_mask:0xf// 00000000A404: 0A8A2AFA FF01519D
	v_mul_f32_dpp v70, v157, v22 row_newbcast:2 row_mask:0xf bank_mask:0xf// 00000000A40C: 0A8C2CFA FF01529D
	v_mul_f32_dpp v71, v157, v23 row_newbcast:3 row_mask:0xf bank_mask:0xf// 00000000A414: 0A8E2EFA FF01539D
	v_mul_f32_dpp v72, v157, v24 row_newbcast:4 row_mask:0xf bank_mask:0xf// 00000000A41C: 0A9030FA FF01549D
	v_mul_f32_dpp v73, v157, v25 row_newbcast:5 row_mask:0xf bank_mask:0xf// 00000000A424: 0A9232FA FF01559D
	v_mul_f32_dpp v74, v157, v26 row_newbcast:6 row_mask:0xf bank_mask:0xf// 00000000A42C: 0A9434FA FF01569D
	v_mul_f32_dpp v75, v157, v27 row_newbcast:7 row_mask:0xf bank_mask:0xf// 00000000A434: 0A9636FA FF01579D
	v_mul_f32_dpp v76, v157, v28 row_newbcast:8 row_mask:0xf bank_mask:0xf// 00000000A43C: 0A9838FA FF01589D
	v_mul_f32_dpp v77, v157, v29 row_newbcast:9 row_mask:0xf bank_mask:0xf// 00000000A444: 0A9A3AFA FF01599D
	v_mul_f32_dpp v78, v157, v30 row_newbcast:10 row_mask:0xf bank_mask:0xf// 00000000A44C: 0A9C3CFA FF015A9D
	v_mul_f32_dpp v79, v157, v31 row_newbcast:11 row_mask:0xf bank_mask:0xf// 00000000A454: 0A9E3EFA FF015B9D
	v_mul_f32_dpp v80, v157, v32 row_newbcast:12 row_mask:0xf bank_mask:0xf// 00000000A45C: 0AA040FA FF015C9D
	v_mul_f32_dpp v81, v157, v33 row_newbcast:13 row_mask:0xf bank_mask:0xf// 00000000A464: 0AA242FA FF015D9D
	v_mul_f32_dpp v82, v157, v34 row_newbcast:14 row_mask:0xf bank_mask:0xf// 00000000A46C: 0AA444FA FF015E9D
	v_mul_f32_dpp v83, v157, v35 row_newbcast:15 row_mask:0xf bank_mask:0xf// 00000000A474: 0AA646FA FF015F9D
	v_mul_f32_dpp v84, v157, v36 row_newbcast:0 row_mask:0xf bank_mask:0xf// 00000000A47C: 0AA848FA FF01509D
	v_mul_f32_dpp v85, v157, v37 row_newbcast:1 row_mask:0xf bank_mask:0xf// 00000000A484: 0AAA4AFA FF01519D
	v_mul_f32_dpp v86, v157, v38 row_newbcast:2 row_mask:0xf bank_mask:0xf// 00000000A48C: 0AAC4CFA FF01529D
	v_mul_f32_dpp v87, v157, v39 row_newbcast:3 row_mask:0xf bank_mask:0xf// 00000000A494: 0AAE4EFA FF01539D
	v_mul_f32_dpp v88, v157, v40 row_newbcast:4 row_mask:0xf bank_mask:0xf// 00000000A49C: 0AB050FA FF01549D
	v_mul_f32_dpp v89, v157, v41 row_newbcast:5 row_mask:0xf bank_mask:0xf// 00000000A4A4: 0AB252FA FF01559D
	v_mul_f32_dpp v90, v157, v42 row_newbcast:6 row_mask:0xf bank_mask:0xf// 00000000A4AC: 0AB454FA FF01569D
	v_mul_f32_dpp v91, v157, v43 row_newbcast:7 row_mask:0xf bank_mask:0xf// 00000000A4B4: 0AB656FA FF01579D
	v_mul_f32_dpp v92, v157, v44 row_newbcast:8 row_mask:0xf bank_mask:0xf// 00000000A4BC: 0AB858FA FF01589D
	v_mul_f32_dpp v93, v157, v45 row_newbcast:9 row_mask:0xf bank_mask:0xf// 00000000A4C4: 0ABA5AFA FF01599D
	v_mul_f32_dpp v94, v157, v46 row_newbcast:10 row_mask:0xf bank_mask:0xf// 00000000A4CC: 0ABC5CFA FF015A9D
	v_mul_f32_dpp v95, v157, v47 row_newbcast:11 row_mask:0xf bank_mask:0xf// 00000000A4D4: 0ABE5EFA FF015B9D
	v_mul_f32_dpp v96, v157, v48 row_newbcast:12 row_mask:0xf bank_mask:0xf// 00000000A4DC: 0AC060FA FF015C9D
	v_mul_f32_dpp v97, v157, v49 row_newbcast:13 row_mask:0xf bank_mask:0xf// 00000000A4E4: 0AC262FA FF015D9D
	v_mul_f32_dpp v98, v157, v50 row_newbcast:14 row_mask:0xf bank_mask:0xf// 00000000A4EC: 0AC464FA FF015E9D
	v_mul_f32_dpp v99, v157, v51 row_newbcast:15 row_mask:0xf bank_mask:0xf// 00000000A4F4: 0AC666FA FF015F9D
	v_add_u32_e32 v204, s64, v221                              // 00000000A4FC: 6999BA40
	v_add_u32_e32 v205, 0, v204                                // 00000000A500: 699B9880
	v_cmp_lt_u32_e32 vcc, v205, v218                           // 00000000A504: 7D93B5CD
	v_cndmask_b32_e32 v52, 0, v52, vcc                         // 00000000A508: 00686880
	v_cmp_lt_u32_e32 vcc, v205, v219                           // 00000000A50C: 7D93B7CD
	v_cndmask_b32_e32 v68, 0, v68, vcc                         // 00000000A510: 00888880
	v_cmp_lt_u32_e32 vcc, v205, v220                           // 00000000A514: 7D93B9CD
	v_cndmask_b32_e32 v84, 0, v84, vcc                         // 00000000A518: 00A8A880
	v_add_u32_e32 v205, 1, v204                                // 00000000A51C: 699B9881
	v_cmp_lt_u32_e32 vcc, v205, v218                           // 00000000A520: 7D93B5CD
	v_cndmask_b32_e32 v53, 0, v53, vcc                         // 00000000A524: 006A6A80
	v_cmp_lt_u32_e32 vcc, v205, v219                           // 00000000A528: 7D93B7CD
	v_cndmask_b32_e32 v69, 0, v69, vcc                         // 00000000A52C: 008A8A80
	v_cmp_lt_u32_e32 vcc, v205, v220                           // 00000000A530: 7D93B9CD
	v_cndmask_b32_e32 v85, 0, v85, vcc                         // 00000000A534: 00AAAA80
	v_add_u32_e32 v205, 2, v204                                // 00000000A538: 699B9882
	v_cmp_lt_u32_e32 vcc, v205, v218                           // 00000000A53C: 7D93B5CD
	v_cndmask_b32_e32 v54, 0, v54, vcc                         // 00000000A540: 006C6C80
	v_cmp_lt_u32_e32 vcc, v205, v219                           // 00000000A544: 7D93B7CD
	v_cndmask_b32_e32 v70, 0, v70, vcc                         // 00000000A548: 008C8C80
	v_cmp_lt_u32_e32 vcc, v205, v220                           // 00000000A54C: 7D93B9CD
	v_cndmask_b32_e32 v86, 0, v86, vcc                         // 00000000A550: 00ACAC80
	v_add_u32_e32 v205, 3, v204                                // 00000000A554: 699B9883
	v_cmp_lt_u32_e32 vcc, v205, v218                           // 00000000A558: 7D93B5CD
	v_cndmask_b32_e32 v55, 0, v55, vcc                         // 00000000A55C: 006E6E80
	v_cmp_lt_u32_e32 vcc, v205, v219                           // 00000000A560: 7D93B7CD
	v_cndmask_b32_e32 v71, 0, v71, vcc                         // 00000000A564: 008E8E80
	v_cmp_lt_u32_e32 vcc, v205, v220                           // 00000000A568: 7D93B9CD
	v_cndmask_b32_e32 v87, 0, v87, vcc                         // 00000000A56C: 00AEAE80
	v_add_u32_e32 v205, 64, v204                               // 00000000A570: 699B98C0
	v_cmp_lt_u32_e32 vcc, v205, v218                           // 00000000A574: 7D93B5CD
	v_cndmask_b32_e32 v56, 0, v56, vcc                         // 00000000A578: 00707080
	v_cmp_lt_u32_e32 vcc, v205, v219                           // 00000000A57C: 7D93B7CD
	v_cndmask_b32_e32 v72, 0, v72, vcc                         // 00000000A580: 00909080
	v_cmp_lt_u32_e32 vcc, v205, v220                           // 00000000A584: 7D93B9CD
	v_cndmask_b32_e32 v88, 0, v88, vcc                         // 00000000A588: 00B0B080
	v_add_u32_e32 v205, 0x41, v204                             // 00000000A58C: 699B98FF 00000041
	v_cmp_lt_u32_e32 vcc, v205, v218                           // 00000000A594: 7D93B5CD
	v_cndmask_b32_e32 v57, 0, v57, vcc                         // 00000000A598: 00727280
	v_cmp_lt_u32_e32 vcc, v205, v219                           // 00000000A59C: 7D93B7CD
	v_cndmask_b32_e32 v73, 0, v73, vcc                         // 00000000A5A0: 00929280
	v_cmp_lt_u32_e32 vcc, v205, v220                           // 00000000A5A4: 7D93B9CD
	v_cndmask_b32_e32 v89, 0, v89, vcc                         // 00000000A5A8: 00B2B280
	v_add_u32_e32 v205, 0x42, v204                             // 00000000A5AC: 699B98FF 00000042
	v_cmp_lt_u32_e32 vcc, v205, v218                           // 00000000A5B4: 7D93B5CD
	v_cndmask_b32_e32 v58, 0, v58, vcc                         // 00000000A5B8: 00747480
	v_cmp_lt_u32_e32 vcc, v205, v219                           // 00000000A5BC: 7D93B7CD
	v_cndmask_b32_e32 v74, 0, v74, vcc                         // 00000000A5C0: 00949480
	v_cmp_lt_u32_e32 vcc, v205, v220                           // 00000000A5C4: 7D93B9CD
	v_cndmask_b32_e32 v90, 0, v90, vcc                         // 00000000A5C8: 00B4B480
	v_add_u32_e32 v205, 0x43, v204                             // 00000000A5CC: 699B98FF 00000043
	v_cmp_lt_u32_e32 vcc, v205, v218                           // 00000000A5D4: 7D93B5CD
	v_cndmask_b32_e32 v59, 0, v59, vcc                         // 00000000A5D8: 00767680
	v_cmp_lt_u32_e32 vcc, v205, v219                           // 00000000A5DC: 7D93B7CD
	v_cndmask_b32_e32 v75, 0, v75, vcc                         // 00000000A5E0: 00969680
	v_cmp_lt_u32_e32 vcc, v205, v220                           // 00000000A5E4: 7D93B9CD
	v_cndmask_b32_e32 v91, 0, v91, vcc                         // 00000000A5E8: 00B6B680
	v_add_u32_e32 v205, 0x80, v204                             // 00000000A5EC: 699B98FF 00000080
	v_cmp_lt_u32_e32 vcc, v205, v218                           // 00000000A5F4: 7D93B5CD
	v_cndmask_b32_e32 v60, 0, v60, vcc                         // 00000000A5F8: 00787880
	v_cmp_lt_u32_e32 vcc, v205, v219                           // 00000000A5FC: 7D93B7CD
	v_cndmask_b32_e32 v76, 0, v76, vcc                         // 00000000A600: 00989880
	v_cmp_lt_u32_e32 vcc, v205, v220                           // 00000000A604: 7D93B9CD
	v_cndmask_b32_e32 v92, 0, v92, vcc                         // 00000000A608: 00B8B880
	v_add_u32_e32 v205, 0x81, v204                             // 00000000A60C: 699B98FF 00000081
	v_cmp_lt_u32_e32 vcc, v205, v218                           // 00000000A614: 7D93B5CD
	v_cndmask_b32_e32 v61, 0, v61, vcc                         // 00000000A618: 007A7A80
	v_cmp_lt_u32_e32 vcc, v205, v219                           // 00000000A61C: 7D93B7CD
	v_cndmask_b32_e32 v77, 0, v77, vcc                         // 00000000A620: 009A9A80
	v_cmp_lt_u32_e32 vcc, v205, v220                           // 00000000A624: 7D93B9CD
	v_cndmask_b32_e32 v93, 0, v93, vcc                         // 00000000A628: 00BABA80
	v_add_u32_e32 v205, 0x82, v204                             // 00000000A62C: 699B98FF 00000082
	v_cmp_lt_u32_e32 vcc, v205, v218                           // 00000000A634: 7D93B5CD
	v_cndmask_b32_e32 v62, 0, v62, vcc                         // 00000000A638: 007C7C80
	v_cmp_lt_u32_e32 vcc, v205, v219                           // 00000000A63C: 7D93B7CD
	v_cndmask_b32_e32 v78, 0, v78, vcc                         // 00000000A640: 009C9C80
	v_cmp_lt_u32_e32 vcc, v205, v220                           // 00000000A644: 7D93B9CD
	v_cndmask_b32_e32 v94, 0, v94, vcc                         // 00000000A648: 00BCBC80
	v_add_u32_e32 v205, 0x83, v204                             // 00000000A64C: 699B98FF 00000083
	v_cmp_lt_u32_e32 vcc, v205, v218                           // 00000000A654: 7D93B5CD
	v_cndmask_b32_e32 v63, 0, v63, vcc                         // 00000000A658: 007E7E80
	v_cmp_lt_u32_e32 vcc, v205, v219                           // 00000000A65C: 7D93B7CD
	v_cndmask_b32_e32 v79, 0, v79, vcc                         // 00000000A660: 009E9E80
	v_cmp_lt_u32_e32 vcc, v205, v220                           // 00000000A664: 7D93B9CD
	v_cndmask_b32_e32 v95, 0, v95, vcc                         // 00000000A668: 00BEBE80
	v_add_u32_e32 v205, 0xc0, v204                             // 00000000A66C: 699B98FF 000000C0
	v_cmp_lt_u32_e32 vcc, v205, v218                           // 00000000A674: 7D93B5CD
	v_cndmask_b32_e32 v64, 0, v64, vcc                         // 00000000A678: 00808080
	v_cmp_lt_u32_e32 vcc, v205, v219                           // 00000000A67C: 7D93B7CD
	v_cndmask_b32_e32 v80, 0, v80, vcc                         // 00000000A680: 00A0A080
	v_cmp_lt_u32_e32 vcc, v205, v220                           // 00000000A684: 7D93B9CD
	v_cndmask_b32_e32 v96, 0, v96, vcc                         // 00000000A688: 00C0C080
	v_add_u32_e32 v205, 0xc1, v204                             // 00000000A68C: 699B98FF 000000C1
	v_cmp_lt_u32_e32 vcc, v205, v218                           // 00000000A694: 7D93B5CD
	v_cndmask_b32_e32 v65, 0, v65, vcc                         // 00000000A698: 00828280
	v_cmp_lt_u32_e32 vcc, v205, v219                           // 00000000A69C: 7D93B7CD
	v_cndmask_b32_e32 v81, 0, v81, vcc                         // 00000000A6A0: 00A2A280
	v_cmp_lt_u32_e32 vcc, v205, v220                           // 00000000A6A4: 7D93B9CD
	v_cndmask_b32_e32 v97, 0, v97, vcc                         // 00000000A6A8: 00C2C280
	v_add_u32_e32 v205, 0xc2, v204                             // 00000000A6AC: 699B98FF 000000C2
	v_cmp_lt_u32_e32 vcc, v205, v218                           // 00000000A6B4: 7D93B5CD
	v_cndmask_b32_e32 v66, 0, v66, vcc                         // 00000000A6B8: 00848480
	v_cmp_lt_u32_e32 vcc, v205, v219                           // 00000000A6BC: 7D93B7CD
	v_cndmask_b32_e32 v82, 0, v82, vcc                         // 00000000A6C0: 00A4A480
	v_cmp_lt_u32_e32 vcc, v205, v220                           // 00000000A6C4: 7D93B9CD
	v_cndmask_b32_e32 v98, 0, v98, vcc                         // 00000000A6C8: 00C4C480
	v_add_u32_e32 v205, 0xc3, v204                             // 00000000A6CC: 699B98FF 000000C3
	v_cmp_lt_u32_e32 vcc, v205, v218                           // 00000000A6D4: 7D93B5CD
	v_cndmask_b32_e32 v67, 0, v67, vcc                         // 00000000A6D8: 00868680
	v_cmp_lt_u32_e32 vcc, v205, v219                           // 00000000A6DC: 7D93B7CD
	v_cndmask_b32_e32 v83, 0, v83, vcc                         // 00000000A6E0: 00A6A680
	v_cmp_lt_u32_e32 vcc, v205, v220                           // 00000000A6E4: 7D93B9CD
	v_cndmask_b32_e32 v99, 0, v99, vcc                         // 00000000A6E8: 00C6C680
	buffer_load_dword v154, v235, s[20:23], 0 offen            // 00000000A6EC: E0501000 80059AEB
	v_sub_f32_e32 v170, v164, v167                             // 00000000A6F4: 05554FA4
	v_cmp_eq_u32_e64 s[98:99], v222, v164                      // 00000000A6F8: D0CA0062 000349DE
	v_cndmask_b32_e64 v170, v170, 0, s[98:99]                  // 00000000A700: D10000AA 018901AA
	v_mov_b32_e32 v164, v167                                   // 00000000A708: 7F4803A7
	v_mul_f32_e32 v170, s46, v170                              // 00000000A70C: 0B55542E
	v_exp_f32_e32 v170, v170                                   // 00000000A710: 7F5441AA
	v_sub_f32_e32 v172, v165, v168                             // 00000000A714: 055951A5
	v_cmp_eq_u32_e64 s[98:99], v222, v165                      // 00000000A718: D0CA0062 00034BDE
	v_cndmask_b32_e64 v172, v172, 0, s[98:99]                  // 00000000A720: D10000AC 018901AC
	v_mov_b32_e32 v165, v168                                   // 00000000A728: 7F4A03A8
	v_mul_f32_e32 v172, s46, v172                              // 00000000A72C: 0B59582E
	v_exp_f32_e32 v172, v172                                   // 00000000A730: 7F5841AC
	v_sub_f32_e32 v174, v166, v169                             // 00000000A734: 055D53A6
	v_cmp_eq_u32_e64 s[98:99], v222, v166                      // 00000000A738: D0CA0062 00034DDE
	v_cndmask_b32_e64 v174, v174, 0, s[98:99]                  // 00000000A740: D10000AE 018901AE
	v_mov_b32_e32 v166, v169                                   // 00000000A748: 7F4C03A9
	v_mul_f32_e32 v174, s46, v174                              // 00000000A74C: 0B5D5C2E
	v_exp_f32_e32 v174, v174                                   // 00000000A750: 7F5C41AE
	v_mov_b32_e32 v171, v170                                   // 00000000A754: 7F5603AA
	v_mov_b32_e32 v173, v172                                   // 00000000A758: 7F5A03AC
	v_mov_b32_e32 v175, v174                                   // 00000000A75C: 7F5E03AE
	s_waitcnt lgkmcnt(0)                                       // 00000000A760: BF8CC07F
	s_barrier                                                  // 00000000A764: BF8A0000
	buffer_load_dword v156, v236, s[24:27], 0 offen            // 00000000A768: E0501000 80069CEC
	v_mul_f32_e32 v176, v170, v176                             // 00000000A770: 0B6161AA
	v_mov_b32_e32 v177, 0                                      // 00000000A774: 7F620280
	v_pk_add_f32 v[176:177], v[4:5], v[176:177]                // 00000000A778: D3B240B0 18036104
	v_pk_add_f32 v[176:177], v[6:7], v[176:177]                // 00000000A780: D3B240B0 18036106
	v_pk_add_f32 v[176:177], v[8:9], v[176:177]                // 00000000A788: D3B240B0 18036108
	v_pk_add_f32 v[176:177], v[10:11], v[176:177]              // 00000000A790: D3B240B0 1803610A
	v_pk_add_f32 v[176:177], v[12:13], v[176:177]              // 00000000A798: D3B240B0 1803610C
	v_pk_add_f32 v[176:177], v[14:15], v[176:177]              // 00000000A7A0: D3B240B0 1803610E
	v_pk_add_f32 v[176:177], v[16:17], v[176:177]              // 00000000A7A8: D3B240B0 18036110
	v_pk_add_f32 v[176:177], v[18:19], v[176:177]              // 00000000A7B0: D3B240B0 18036112
	v_add_f32_e32 v176, v177, v176                             // 00000000A7B8: 036161B1
	v_mul_f32_e32 v178, v172, v178                             // 00000000A7BC: 0B6565AC
	v_mov_b32_e32 v179, 0                                      // 00000000A7C0: 7F660280
	v_pk_add_f32 v[178:179], v[20:21], v[178:179]              // 00000000A7C4: D3B240B2 18036514
	v_pk_add_f32 v[178:179], v[22:23], v[178:179]              // 00000000A7CC: D3B240B2 18036516
	v_pk_add_f32 v[178:179], v[24:25], v[178:179]              // 00000000A7D4: D3B240B2 18036518
	v_pk_add_f32 v[178:179], v[26:27], v[178:179]              // 00000000A7DC: D3B240B2 1803651A
	v_pk_add_f32 v[178:179], v[28:29], v[178:179]              // 00000000A7E4: D3B240B2 1803651C
	v_pk_add_f32 v[178:179], v[30:31], v[178:179]              // 00000000A7EC: D3B240B2 1803651E
	v_pk_add_f32 v[178:179], v[32:33], v[178:179]              // 00000000A7F4: D3B240B2 18036520
	v_pk_add_f32 v[178:179], v[34:35], v[178:179]              // 00000000A7FC: D3B240B2 18036522
	v_add_f32_e32 v178, v179, v178                             // 00000000A804: 036565B3
	v_mul_f32_e32 v180, v174, v180                             // 00000000A808: 0B6969AE
	v_mov_b32_e32 v181, 0                                      // 00000000A80C: 7F6A0280
	v_pk_add_f32 v[180:181], v[36:37], v[180:181]              // 00000000A810: D3B240B4 18036924
	v_pk_add_f32 v[180:181], v[38:39], v[180:181]              // 00000000A818: D3B240B4 18036926
	v_pk_add_f32 v[180:181], v[40:41], v[180:181]              // 00000000A820: D3B240B4 18036928
	v_pk_add_f32 v[180:181], v[42:43], v[180:181]              // 00000000A828: D3B240B4 1803692A
	v_pk_add_f32 v[180:181], v[44:45], v[180:181]              // 00000000A830: D3B240B4 1803692C
	v_pk_add_f32 v[180:181], v[46:47], v[180:181]              // 00000000A838: D3B240B4 1803692E
	v_pk_add_f32 v[180:181], v[48:49], v[180:181]              // 00000000A840: D3B240B4 18036930
	v_pk_add_f32 v[180:181], v[50:51], v[180:181]              // 00000000A848: D3B240B4 18036932
	v_add_f32_e32 v180, v181, v180                             // 00000000A850: 036969B5
	s_waitcnt lgkmcnt(0)                                       // 00000000A854: BF8CC07F
	v_sub_f32_e32 v182, v182, v164                             // 00000000A858: 056D49B6
	v_sub_f32_e32 v183, v183, v165                             // 00000000A85C: 056F4BB7
	v_sub_f32_e32 v184, v184, v166                             // 00000000A860: 05714DB8
	v_mul_f32_e32 v182, s46, v182                              // 00000000A864: 0B6D6C2E
	v_mul_f32_e32 v183, s46, v183                              // 00000000A868: 0B6F6E2E
	v_mul_f32_e32 v184, s46, v184                              // 00000000A86C: 0B71702E
	v_exp_f32_e32 v182, v182                                   // 00000000A870: 7F6C41B6
	v_exp_f32_e32 v183, v183                                   // 00000000A874: 7F6E41B7
	v_exp_f32_e32 v184, v184                                   // 00000000A878: 7F7041B8
	v_mul_f32_e32 v182, v157, v182                             // 00000000A87C: 0B6D6D9D
	v_mul_f32_e32 v183, v157, v183                             // 00000000A880: 0B6F6F9D
	v_mul_f32_e32 v184, v157, v184                             // 00000000A884: 0B71719D
	v_add_f32_e32 v182, 0x3089705f, v182                       // 00000000A888: 036D6CFF 3089705F
	v_add_f32_e32 v183, 0x3089705f, v183                       // 00000000A890: 036F6EFF 3089705F
	v_add_f32_e32 v184, 0x3089705f, v184                       // 00000000A898: 037170FF 3089705F
	v_rcp_f32_e32 v182, v182                                   // 00000000A8A0: 7F6C45B6
	v_rcp_f32_e32 v183, v183                                   // 00000000A8A4: 7F6E45B7
	v_rcp_f32_e32 v184, v184                                   // 00000000A8A8: 7F7045B8
	v_mul_f32_e32 v182, 0x43700000, v182                       // 00000000A8AC: 0B6D6CFF 43700000
	v_mul_f32_e32 v183, 0x43700000, v183                       // 00000000A8B4: 0B6F6EFF 43700000
	v_mul_f32_e32 v184, 0x43700000, v184                       // 00000000A8BC: 0B7170FF 43700000
	v_mov_b32_e32 v186, v184                                   // 00000000A8C4: 7F7403B8
	v_mov_b32_e32 v187, v184                                   // 00000000A8C8: 7F7603B8
	v_mov_b32_e32 v184, v183                                   // 00000000A8CC: 7F7003B7
	v_mov_b32_e32 v185, v183                                   // 00000000A8D0: 7F7203B7
	v_mov_b32_e32 v183, v182                                   // 00000000A8D4: 7F6E03B6
	v_pk_mul_f32 v[4:5], v[182:183], v[52:53]                  // 00000000A8D8: D3B14004 180269B6
	v_pk_mul_f32 v[6:7], v[182:183], v[54:55]                  // 00000000A8E0: D3B14006 18026DB6
	v_pk_mul_f32 v[8:9], v[182:183], v[56:57]                  // 00000000A8E8: D3B14008 180271B6
	v_pk_mul_f32 v[10:11], v[182:183], v[58:59]                // 00000000A8F0: D3B1400A 180275B6
	v_pk_mul_f32 v[12:13], v[182:183], v[60:61]                // 00000000A8F8: D3B1400C 180279B6
	v_pk_mul_f32 v[14:15], v[182:183], v[62:63]                // 00000000A900: D3B1400E 18027DB6
	v_pk_mul_f32 v[16:17], v[182:183], v[64:65]                // 00000000A908: D3B14010 180281B6
	v_pk_mul_f32 v[18:19], v[182:183], v[66:67]                // 00000000A910: D3B14012 180285B6
	v_pk_mul_f32 v[20:21], v[184:185], v[68:69]                // 00000000A918: D3B14014 180289B8
	v_pk_mul_f32 v[22:23], v[184:185], v[70:71]                // 00000000A920: D3B14016 18028DB8
	v_pk_mul_f32 v[24:25], v[184:185], v[72:73]                // 00000000A928: D3B14018 180291B8
	v_pk_mul_f32 v[26:27], v[184:185], v[74:75]                // 00000000A930: D3B1401A 180295B8
	v_pk_mul_f32 v[28:29], v[184:185], v[76:77]                // 00000000A938: D3B1401C 180299B8
	v_pk_mul_f32 v[30:31], v[184:185], v[78:79]                // 00000000A940: D3B1401E 18029DB8
	v_pk_mul_f32 v[32:33], v[184:185], v[80:81]                // 00000000A948: D3B14020 1802A1B8
	v_pk_mul_f32 v[34:35], v[184:185], v[82:83]                // 00000000A950: D3B14022 1802A5B8
	v_pk_mul_f32 v[36:37], v[186:187], v[84:85]                // 00000000A958: D3B14024 1802A9BA
	v_pk_mul_f32 v[38:39], v[186:187], v[86:87]                // 00000000A960: D3B14026 1802ADBA
	v_pk_mul_f32 v[40:41], v[186:187], v[88:89]                // 00000000A968: D3B14028 1802B1BA
	v_pk_mul_f32 v[42:43], v[186:187], v[90:91]                // 00000000A970: D3B1402A 1802B5BA
	v_pk_mul_f32 v[44:45], v[186:187], v[92:93]                // 00000000A978: D3B1402C 1802B9BA
	v_pk_mul_f32 v[46:47], v[186:187], v[94:95]                // 00000000A980: D3B1402E 1802BDBA
	v_pk_mul_f32 v[48:49], v[186:187], v[96:97]                // 00000000A988: D3B14030 1802C1BA
	v_pk_mul_f32 v[50:51], v[186:187], v[98:99]                // 00000000A990: D3B14032 1802C5BA
	v_cvt_pk_fp8_f32 v4, v4, v5                                // 00000000A998: D2A20004 00020B04
	v_cvt_pk_fp8_f32 v4, v6, v7 op_sel:[0,0,1]                 // 00000000A9A0: D2A24004 00020F06
	v_cvt_pk_fp8_f32 v5, v8, v9                                // 00000000A9A8: D2A20005 00021308
	v_cvt_pk_fp8_f32 v5, v10, v11 op_sel:[0,0,1]               // 00000000A9B0: D2A24005 0002170A
	v_cvt_pk_fp8_f32 v6, v12, v13                              // 00000000A9B8: D2A20006 00021B0C
	v_cvt_pk_fp8_f32 v6, v14, v15 op_sel:[0,0,1]               // 00000000A9C0: D2A24006 00021F0E
	v_cvt_pk_fp8_f32 v7, v16, v17                              // 00000000A9C8: D2A20007 00022310
	v_cvt_pk_fp8_f32 v7, v18, v19 op_sel:[0,0,1]               // 00000000A9D0: D2A24007 00022712
	v_cvt_pk_fp8_f32 v8, v20, v21                              // 00000000A9D8: D2A20008 00022B14
	v_cvt_pk_fp8_f32 v8, v22, v23 op_sel:[0,0,1]               // 00000000A9E0: D2A24008 00022F16
	v_cvt_pk_fp8_f32 v9, v24, v25                              // 00000000A9E8: D2A20009 00023318
	v_cvt_pk_fp8_f32 v9, v26, v27 op_sel:[0,0,1]               // 00000000A9F0: D2A24009 0002371A
	v_cvt_pk_fp8_f32 v10, v28, v29                             // 00000000A9F8: D2A2000A 00023B1C
	v_cvt_pk_fp8_f32 v10, v30, v31 op_sel:[0,0,1]              // 00000000AA00: D2A2400A 00023F1E
	v_cvt_pk_fp8_f32 v11, v32, v33                             // 00000000AA08: D2A2000B 00024320
	v_cvt_pk_fp8_f32 v11, v34, v35 op_sel:[0,0,1]              // 00000000AA10: D2A2400B 00024722
	v_cvt_pk_fp8_f32 v12, v36, v37                             // 00000000AA18: D2A2000C 00024B24
	v_cvt_pk_fp8_f32 v12, v38, v39 op_sel:[0,0,1]              // 00000000AA20: D2A2400C 00024F26
	v_cvt_pk_fp8_f32 v13, v40, v41                             // 00000000AA28: D2A2000D 00025328
	v_cvt_pk_fp8_f32 v13, v42, v43 op_sel:[0,0,1]              // 00000000AA30: D2A2400D 0002572A
	v_cvt_pk_fp8_f32 v14, v44, v45                             // 00000000AA38: D2A2000E 00025B2C
	v_cvt_pk_fp8_f32 v14, v46, v47 op_sel:[0,0,1]              // 00000000AA40: D2A2400E 00025F2E
	v_cvt_pk_fp8_f32 v15, v48, v49                             // 00000000AA48: D2A2000F 00026330
	v_cvt_pk_fp8_f32 v15, v50, v51 op_sel:[0,0,1]              // 00000000AA50: D2A2400F 00026732
	ds_write_b32 v251, v4 offset:8192                          // 00000000AA58: D81A2000 000004FB
	ds_write_b32 v251, v5 offset:9216                          // 00000000AA60: D81A2400 000005FB
	ds_write_b32 v251, v6 offset:10240                         // 00000000AA68: D81A2800 000006FB
	ds_write_b32 v251, v7 offset:11264                         // 00000000AA70: D81A2C00 000007FB
	ds_write_b32 v251, v8 offset:12288                         // 00000000AA78: D81A3000 000008FB
	ds_write_b32 v251, v9 offset:13312                         // 00000000AA80: D81A3400 000009FB
	ds_write_b32 v251, v10 offset:14336                        // 00000000AA88: D81A3800 00000AFB
	ds_write_b32 v251, v11 offset:15360                        // 00000000AA90: D81A3C00 00000BFB
	ds_write_b32 v251, v12 offset:16384                        // 00000000AA98: D81A4000 00000CFB
	ds_write_b32 v251, v13 offset:17408                        // 00000000AAA0: D81A4400 00000DFB
	ds_write_b32 v251, v14 offset:18432                        // 00000000AAA8: D81A4800 00000EFB
	ds_write_b32 v251, v15 offset:19456                        // 00000000AAB0: D81A4C00 00000FFB
	v_rcp_f32_e32 v158, v182                                   // 00000000AAB8: 7F3C45B6
	v_rcp_f32_e32 v160, v184                                   // 00000000AABC: 7F4045B8
	v_rcp_f32_e32 v162, v186                                   // 00000000AAC0: 7F4445BA
	v_mov_b32_e32 v159, v158                                   // 00000000AAC4: 7F3E039E
	v_mov_b32_e32 v161, v160                                   // 00000000AAC8: 7F4203A0
	v_mov_b32_e32 v163, v162                                   // 00000000AACC: 7F4603A2
	v_pk_add_f32 v[124:125], v[124:125], v[100:101]            // 00000000AAD0: D3B2407C 1802C97C
	v_pk_add_f32 v[126:127], v[126:127], v[102:103]            // 00000000AAD8: D3B2407E 1802CD7E
	v_pk_add_f32 v[128:129], v[128:129], v[104:105]            // 00000000AAE0: D3B24080 1802D180
	v_pk_add_f32 v[130:131], v[130:131], v[106:107]            // 00000000AAE8: D3B24082 1802D582
	v_pk_add_f32 v[132:133], v[132:133], v[108:109]            // 00000000AAF0: D3B24084 1802D984
	v_pk_add_f32 v[134:135], v[134:135], v[110:111]            // 00000000AAF8: D3B24086 1802DD86
	v_pk_add_f32 v[136:137], v[136:137], v[112:113]            // 00000000AB00: D3B24088 1802E188
	v_pk_add_f32 v[138:139], v[138:139], v[114:115]            // 00000000AB08: D3B2408A 1802E58A
	v_pk_add_f32 v[140:141], v[140:141], v[116:117]            // 00000000AB10: D3B2408C 1802E98C
	v_pk_add_f32 v[142:143], v[142:143], v[118:119]            // 00000000AB18: D3B2408E 1802ED8E
	v_pk_add_f32 v[144:145], v[144:145], v[120:121]            // 00000000AB20: D3B24090 1802F190
	v_pk_add_f32 v[146:147], v[146:147], v[122:123]            // 00000000AB28: D3B24092 1802F592
	s_waitcnt lgkmcnt(0)                                       // 00000000AB30: BF8CC07F
	s_barrier                                                  // 00000000AB34: BF8A0000
	ds_read_b128 v[4:7], v252 offset:8192                      // 00000000AB38: D9FE2000 040000FC
	ds_read_b128 v[8:11], v252 offset:9216                     // 00000000AB40: D9FE2400 080000FC
	ds_read_b128 v[12:15], v252 offset:10240                   // 00000000AB48: D9FE2800 0C0000FC
	ds_read_b128 v[16:19], v252 offset:11264                   // 00000000AB50: D9FE2C00 100000FC
	ds_read_b128 v[20:23], v252 offset:12288                   // 00000000AB58: D9FE3000 140000FC
	ds_read_b128 v[24:27], v252 offset:13312                   // 00000000AB60: D9FE3400 180000FC
	ds_read_b128 v[28:31], v252 offset:14336                   // 00000000AB68: D9FE3800 1C0000FC
	ds_read_b128 v[32:35], v252 offset:15360                   // 00000000AB70: D9FE3C00 200000FC
	ds_read_b128 v[36:39], v252 offset:16384                   // 00000000AB78: D9FE4000 240000FC
	ds_read_b128 v[40:43], v252 offset:17408                   // 00000000AB80: D9FE4400 280000FC
	ds_read_b128 v[44:47], v252 offset:18432                   // 00000000AB88: D9FE4800 2C0000FC
	ds_read_b128 v[48:51], v252 offset:19456                   // 00000000AB90: D9FE4C00 300000FC
	s_waitcnt vmcnt(10)                                        // 00000000AB98: BF8C0F7A
	v_lshrrev_b32_e32 v211, 4, v0                              // 00000000AB9C: 21A60084
	v_lshlrev_b32_e32 v211, 4, v211                            // 00000000ABA0: 25A7A684
	v_add_u32_e32 v204, s64, v211                              // 00000000ABA4: 6999A640
	v_add_u32_e32 v204, 4, v204                                // 00000000ABA8: 69999884
	v_sub_i32 v204, v204, s62                                  // 00000000ABAC: D29D00CC 00007DCC
	s_mov_b32 s54, 0                                           // 00000000ABB4: BEB60080
	v_add_i32 v205, s54, v204                                  // 00000000ABB8: D29C00CD 00039836
	v_cmp_lt_i32_e64 vcc, v205, 4                              // 00000000ABC0: D0C1006A 000109CD
	v_min_u32_e32 v205, 4, v205                                // 00000000ABC8: 1D9B9A84
	v_lshlrev_b32_e32 v205, 3, v205                            // 00000000ABCC: 259B9A83
	v_lshrrev_b32_e64 v206, v205, -1                           // 00000000ABD0: D11000CE 000183CD
	v_accvgpr_read_b32 v207, a120                              // 00000000ABD8: D3D840CF 18000178
	v_cndmask_b32_e32 v207, 0, v207, vcc                       // 00000000ABE0: 019F9E80
	v_and_b32_e32 v207, v207, v206                             // 00000000ABE4: 279F9DCF
	v_accvgpr_write_b32 a120, v207                             // 00000000ABE8: D3D94078 180001CF
	v_accvgpr_read_b32 v207, a136                              // 00000000ABF0: D3D840CF 18000188
	v_cndmask_b32_e32 v207, 0, v207, vcc                       // 00000000ABF8: 019F9E80
	v_and_b32_e32 v207, v207, v206                             // 00000000ABFC: 279F9DCF
	v_accvgpr_write_b32 a136, v207                             // 00000000AC00: D3D94088 180001CF
	s_mov_b32 s54, 4                                           // 00000000AC08: BEB60084
	v_add_i32 v205, s54, v204                                  // 00000000AC0C: D29C00CD 00039836
	v_cmp_lt_i32_e64 vcc, v205, 4                              // 00000000AC14: D0C1006A 000109CD
	v_min_u32_e32 v205, 4, v205                                // 00000000AC1C: 1D9B9A84
	v_lshlrev_b32_e32 v205, 3, v205                            // 00000000AC20: 259B9A83
	v_lshrrev_b32_e64 v206, v205, -1                           // 00000000AC24: D11000CE 000183CD
	v_accvgpr_read_b32 v207, a121                              // 00000000AC2C: D3D840CF 18000179
	v_cndmask_b32_e32 v207, 0, v207, vcc                       // 00000000AC34: 019F9E80
	v_and_b32_e32 v207, v207, v206                             // 00000000AC38: 279F9DCF
	v_accvgpr_write_b32 a121, v207                             // 00000000AC3C: D3D94079 180001CF
	v_accvgpr_read_b32 v207, a137                              // 00000000AC44: D3D840CF 18000189
	v_cndmask_b32_e32 v207, 0, v207, vcc                       // 00000000AC4C: 019F9E80
	v_and_b32_e32 v207, v207, v206                             // 00000000AC50: 279F9DCF
	v_accvgpr_write_b32 a137, v207                             // 00000000AC54: D3D94089 180001CF
	s_mov_b32 s54, 8                                           // 00000000AC5C: BEB60088
	v_add_i32 v205, s54, v204                                  // 00000000AC60: D29C00CD 00039836
	v_cmp_lt_i32_e64 vcc, v205, 4                              // 00000000AC68: D0C1006A 000109CD
	v_min_u32_e32 v205, 4, v205                                // 00000000AC70: 1D9B9A84
	v_lshlrev_b32_e32 v205, 3, v205                            // 00000000AC74: 259B9A83
	v_lshrrev_b32_e64 v206, v205, -1                           // 00000000AC78: D11000CE 000183CD
	v_accvgpr_read_b32 v207, a122                              // 00000000AC80: D3D840CF 1800017A
	v_cndmask_b32_e32 v207, 0, v207, vcc                       // 00000000AC88: 019F9E80
	v_and_b32_e32 v207, v207, v206                             // 00000000AC8C: 279F9DCF
	v_accvgpr_write_b32 a122, v207                             // 00000000AC90: D3D9407A 180001CF
	v_accvgpr_read_b32 v207, a138                              // 00000000AC98: D3D840CF 1800018A
	v_cndmask_b32_e32 v207, 0, v207, vcc                       // 00000000ACA0: 019F9E80
	v_and_b32_e32 v207, v207, v206                             // 00000000ACA4: 279F9DCF
	v_accvgpr_write_b32 a138, v207                             // 00000000ACA8: D3D9408A 180001CF
	s_mov_b32 s54, 12                                          // 00000000ACB0: BEB6008C
	v_add_i32 v205, s54, v204                                  // 00000000ACB4: D29C00CD 00039836
	v_cmp_lt_i32_e64 vcc, v205, 4                              // 00000000ACBC: D0C1006A 000109CD
	v_min_u32_e32 v205, 4, v205                                // 00000000ACC4: 1D9B9A84
	v_lshlrev_b32_e32 v205, 3, v205                            // 00000000ACC8: 259B9A83
	v_lshrrev_b32_e64 v206, v205, -1                           // 00000000ACCC: D11000CE 000183CD
	v_accvgpr_read_b32 v207, a123                              // 00000000ACD4: D3D840CF 1800017B
	v_cndmask_b32_e32 v207, 0, v207, vcc                       // 00000000ACDC: 019F9E80
	v_and_b32_e32 v207, v207, v206                             // 00000000ACE0: 279F9DCF
	v_accvgpr_write_b32 a123, v207                             // 00000000ACE4: D3D9407B 180001CF
	v_accvgpr_read_b32 v207, a139                              // 00000000ACEC: D3D840CF 1800018B
	v_cndmask_b32_e32 v207, 0, v207, vcc                       // 00000000ACF4: 019F9E80
	v_and_b32_e32 v207, v207, v206                             // 00000000ACF8: 279F9DCF
	v_accvgpr_write_b32 a139, v207                             // 00000000ACFC: D3D9408B 180001CF
	s_mov_b32 s54, 64                                          // 00000000AD04: BEB600C0
	v_add_i32 v205, s54, v204                                  // 00000000AD08: D29C00CD 00039836
	v_cmp_lt_i32_e64 vcc, v205, 4                              // 00000000AD10: D0C1006A 000109CD
	v_min_u32_e32 v205, 4, v205                                // 00000000AD18: 1D9B9A84
	v_lshlrev_b32_e32 v205, 3, v205                            // 00000000AD1C: 259B9A83
	v_lshrrev_b32_e64 v206, v205, -1                           // 00000000AD20: D11000CE 000183CD
	v_accvgpr_read_b32 v207, a124                              // 00000000AD28: D3D840CF 1800017C
	v_cndmask_b32_e32 v207, 0, v207, vcc                       // 00000000AD30: 019F9E80
	v_and_b32_e32 v207, v207, v206                             // 00000000AD34: 279F9DCF
	v_accvgpr_write_b32 a124, v207                             // 00000000AD38: D3D9407C 180001CF
	v_accvgpr_read_b32 v207, a140                              // 00000000AD40: D3D840CF 1800018C
	v_cndmask_b32_e32 v207, 0, v207, vcc                       // 00000000AD48: 019F9E80
	v_and_b32_e32 v207, v207, v206                             // 00000000AD4C: 279F9DCF
	v_accvgpr_write_b32 a140, v207                             // 00000000AD50: D3D9408C 180001CF
	s_mov_b32 s54, 0x44                                        // 00000000AD58: BEB600FF 00000044
	v_add_i32 v205, s54, v204                                  // 00000000AD60: D29C00CD 00039836
	v_cmp_lt_i32_e64 vcc, v205, 4                              // 00000000AD68: D0C1006A 000109CD
	v_min_u32_e32 v205, 4, v205                                // 00000000AD70: 1D9B9A84
	v_lshlrev_b32_e32 v205, 3, v205                            // 00000000AD74: 259B9A83
	v_lshrrev_b32_e64 v206, v205, -1                           // 00000000AD78: D11000CE 000183CD
	v_accvgpr_read_b32 v207, a125                              // 00000000AD80: D3D840CF 1800017D
	v_cndmask_b32_e32 v207, 0, v207, vcc                       // 00000000AD88: 019F9E80
	v_and_b32_e32 v207, v207, v206                             // 00000000AD8C: 279F9DCF
	v_accvgpr_write_b32 a125, v207                             // 00000000AD90: D3D9407D 180001CF
	v_accvgpr_read_b32 v207, a141                              // 00000000AD98: D3D840CF 1800018D
	v_cndmask_b32_e32 v207, 0, v207, vcc                       // 00000000ADA0: 019F9E80
	v_and_b32_e32 v207, v207, v206                             // 00000000ADA4: 279F9DCF
	v_accvgpr_write_b32 a141, v207                             // 00000000ADA8: D3D9408D 180001CF
	s_mov_b32 s54, 0x48                                        // 00000000ADB0: BEB600FF 00000048
	v_add_i32 v205, s54, v204                                  // 00000000ADB8: D29C00CD 00039836
	v_cmp_lt_i32_e64 vcc, v205, 4                              // 00000000ADC0: D0C1006A 000109CD
	v_min_u32_e32 v205, 4, v205                                // 00000000ADC8: 1D9B9A84
	v_lshlrev_b32_e32 v205, 3, v205                            // 00000000ADCC: 259B9A83
	v_lshrrev_b32_e64 v206, v205, -1                           // 00000000ADD0: D11000CE 000183CD
	v_accvgpr_read_b32 v207, a126                              // 00000000ADD8: D3D840CF 1800017E
	v_cndmask_b32_e32 v207, 0, v207, vcc                       // 00000000ADE0: 019F9E80
	v_and_b32_e32 v207, v207, v206                             // 00000000ADE4: 279F9DCF
	v_accvgpr_write_b32 a126, v207                             // 00000000ADE8: D3D9407E 180001CF
	v_accvgpr_read_b32 v207, a142                              // 00000000ADF0: D3D840CF 1800018E
	v_cndmask_b32_e32 v207, 0, v207, vcc                       // 00000000ADF8: 019F9E80
	v_and_b32_e32 v207, v207, v206                             // 00000000ADFC: 279F9DCF
	v_accvgpr_write_b32 a142, v207                             // 00000000AE00: D3D9408E 180001CF
	s_mov_b32 s54, 0x4c                                        // 00000000AE08: BEB600FF 0000004C
	v_add_i32 v205, s54, v204                                  // 00000000AE10: D29C00CD 00039836
	v_cmp_lt_i32_e64 vcc, v205, 4                              // 00000000AE18: D0C1006A 000109CD
	v_min_u32_e32 v205, 4, v205                                // 00000000AE20: 1D9B9A84
	v_lshlrev_b32_e32 v205, 3, v205                            // 00000000AE24: 259B9A83
	v_lshrrev_b32_e64 v206, v205, -1                           // 00000000AE28: D11000CE 000183CD
	v_accvgpr_read_b32 v207, a127                              // 00000000AE30: D3D840CF 1800017F
	v_cndmask_b32_e32 v207, 0, v207, vcc                       // 00000000AE38: 019F9E80
	v_and_b32_e32 v207, v207, v206                             // 00000000AE3C: 279F9DCF
	v_accvgpr_write_b32 a127, v207                             // 00000000AE40: D3D9407F 180001CF
	v_accvgpr_read_b32 v207, a143                              // 00000000AE48: D3D840CF 1800018F
	v_cndmask_b32_e32 v207, 0, v207, vcc                       // 00000000AE50: 019F9E80
	v_and_b32_e32 v207, v207, v206                             // 00000000AE54: 279F9DCF
	v_accvgpr_write_b32 a143, v207                             // 00000000AE58: D3D9408F 180001CF
	s_mov_b32 s54, 0x80                                        // 00000000AE60: BEB600FF 00000080
	v_add_i32 v205, s54, v204                                  // 00000000AE68: D29C00CD 00039836
	v_cmp_lt_i32_e64 vcc, v205, 4                              // 00000000AE70: D0C1006A 000109CD
	v_min_u32_e32 v205, 4, v205                                // 00000000AE78: 1D9B9A84
	v_lshlrev_b32_e32 v205, 3, v205                            // 00000000AE7C: 259B9A83
	v_lshrrev_b32_e64 v206, v205, -1                           // 00000000AE80: D11000CE 000183CD
	v_accvgpr_read_b32 v207, a128                              // 00000000AE88: D3D840CF 18000180
	v_cndmask_b32_e32 v207, 0, v207, vcc                       // 00000000AE90: 019F9E80
	v_and_b32_e32 v207, v207, v206                             // 00000000AE94: 279F9DCF
	v_accvgpr_write_b32 a128, v207                             // 00000000AE98: D3D94080 180001CF
	v_accvgpr_read_b32 v207, a144                              // 00000000AEA0: D3D840CF 18000190
	v_cndmask_b32_e32 v207, 0, v207, vcc                       // 00000000AEA8: 019F9E80
	v_and_b32_e32 v207, v207, v206                             // 00000000AEAC: 279F9DCF
	v_accvgpr_write_b32 a144, v207                             // 00000000AEB0: D3D94090 180001CF
	s_mov_b32 s54, 0x84                                        // 00000000AEB8: BEB600FF 00000084
	v_add_i32 v205, s54, v204                                  // 00000000AEC0: D29C00CD 00039836
	v_cmp_lt_i32_e64 vcc, v205, 4                              // 00000000AEC8: D0C1006A 000109CD
	v_min_u32_e32 v205, 4, v205                                // 00000000AED0: 1D9B9A84
	v_lshlrev_b32_e32 v205, 3, v205                            // 00000000AED4: 259B9A83
	v_lshrrev_b32_e64 v206, v205, -1                           // 00000000AED8: D11000CE 000183CD
	v_accvgpr_read_b32 v207, a129                              // 00000000AEE0: D3D840CF 18000181
	v_cndmask_b32_e32 v207, 0, v207, vcc                       // 00000000AEE8: 019F9E80
	v_and_b32_e32 v207, v207, v206                             // 00000000AEEC: 279F9DCF
	v_accvgpr_write_b32 a129, v207                             // 00000000AEF0: D3D94081 180001CF
	v_accvgpr_read_b32 v207, a145                              // 00000000AEF8: D3D840CF 18000191
	v_cndmask_b32_e32 v207, 0, v207, vcc                       // 00000000AF00: 019F9E80
	v_and_b32_e32 v207, v207, v206                             // 00000000AF04: 279F9DCF
	v_accvgpr_write_b32 a145, v207                             // 00000000AF08: D3D94091 180001CF
	s_mov_b32 s54, 0x88                                        // 00000000AF10: BEB600FF 00000088
	v_add_i32 v205, s54, v204                                  // 00000000AF18: D29C00CD 00039836
	v_cmp_lt_i32_e64 vcc, v205, 4                              // 00000000AF20: D0C1006A 000109CD
	v_min_u32_e32 v205, 4, v205                                // 00000000AF28: 1D9B9A84
	v_lshlrev_b32_e32 v205, 3, v205                            // 00000000AF2C: 259B9A83
	v_lshrrev_b32_e64 v206, v205, -1                           // 00000000AF30: D11000CE 000183CD
	v_accvgpr_read_b32 v207, a130                              // 00000000AF38: D3D840CF 18000182
	v_cndmask_b32_e32 v207, 0, v207, vcc                       // 00000000AF40: 019F9E80
	v_and_b32_e32 v207, v207, v206                             // 00000000AF44: 279F9DCF
	v_accvgpr_write_b32 a130, v207                             // 00000000AF48: D3D94082 180001CF
	v_accvgpr_read_b32 v207, a146                              // 00000000AF50: D3D840CF 18000192
	v_cndmask_b32_e32 v207, 0, v207, vcc                       // 00000000AF58: 019F9E80
	v_and_b32_e32 v207, v207, v206                             // 00000000AF5C: 279F9DCF
	v_accvgpr_write_b32 a146, v207                             // 00000000AF60: D3D94092 180001CF
	s_mov_b32 s54, 0x8c                                        // 00000000AF68: BEB600FF 0000008C
	v_add_i32 v205, s54, v204                                  // 00000000AF70: D29C00CD 00039836
	v_cmp_lt_i32_e64 vcc, v205, 4                              // 00000000AF78: D0C1006A 000109CD
	v_min_u32_e32 v205, 4, v205                                // 00000000AF80: 1D9B9A84
	v_lshlrev_b32_e32 v205, 3, v205                            // 00000000AF84: 259B9A83
	v_lshrrev_b32_e64 v206, v205, -1                           // 00000000AF88: D11000CE 000183CD
	v_accvgpr_read_b32 v207, a131                              // 00000000AF90: D3D840CF 18000183
	v_cndmask_b32_e32 v207, 0, v207, vcc                       // 00000000AF98: 019F9E80
	v_and_b32_e32 v207, v207, v206                             // 00000000AF9C: 279F9DCF
	v_accvgpr_write_b32 a131, v207                             // 00000000AFA0: D3D94083 180001CF
	v_accvgpr_read_b32 v207, a147                              // 00000000AFA8: D3D840CF 18000193
	v_cndmask_b32_e32 v207, 0, v207, vcc                       // 00000000AFB0: 019F9E80
	v_and_b32_e32 v207, v207, v206                             // 00000000AFB4: 279F9DCF
	v_accvgpr_write_b32 a147, v207                             // 00000000AFB8: D3D94093 180001CF
	s_mov_b32 s54, 0xc0                                        // 00000000AFC0: BEB600FF 000000C0
	v_add_i32 v205, s54, v204                                  // 00000000AFC8: D29C00CD 00039836
	v_cmp_lt_i32_e64 vcc, v205, 4                              // 00000000AFD0: D0C1006A 000109CD
	v_min_u32_e32 v205, 4, v205                                // 00000000AFD8: 1D9B9A84
	v_lshlrev_b32_e32 v205, 3, v205                            // 00000000AFDC: 259B9A83
	v_lshrrev_b32_e64 v206, v205, -1                           // 00000000AFE0: D11000CE 000183CD
	v_accvgpr_read_b32 v207, a132                              // 00000000AFE8: D3D840CF 18000184
	v_cndmask_b32_e32 v207, 0, v207, vcc                       // 00000000AFF0: 019F9E80
	v_and_b32_e32 v207, v207, v206                             // 00000000AFF4: 279F9DCF
	v_accvgpr_write_b32 a132, v207                             // 00000000AFF8: D3D94084 180001CF
	v_accvgpr_read_b32 v207, a148                              // 00000000B000: D3D840CF 18000194
	v_cndmask_b32_e32 v207, 0, v207, vcc                       // 00000000B008: 019F9E80
	v_and_b32_e32 v207, v207, v206                             // 00000000B00C: 279F9DCF
	v_accvgpr_write_b32 a148, v207                             // 00000000B010: D3D94094 180001CF
	s_mov_b32 s54, 0xc4                                        // 00000000B018: BEB600FF 000000C4
	v_add_i32 v205, s54, v204                                  // 00000000B020: D29C00CD 00039836
	v_cmp_lt_i32_e64 vcc, v205, 4                              // 00000000B028: D0C1006A 000109CD
	v_min_u32_e32 v205, 4, v205                                // 00000000B030: 1D9B9A84
	v_lshlrev_b32_e32 v205, 3, v205                            // 00000000B034: 259B9A83
	v_lshrrev_b32_e64 v206, v205, -1                           // 00000000B038: D11000CE 000183CD
	v_accvgpr_read_b32 v207, a133                              // 00000000B040: D3D840CF 18000185
	v_cndmask_b32_e32 v207, 0, v207, vcc                       // 00000000B048: 019F9E80
	v_and_b32_e32 v207, v207, v206                             // 00000000B04C: 279F9DCF
	v_accvgpr_write_b32 a133, v207                             // 00000000B050: D3D94085 180001CF
	v_accvgpr_read_b32 v207, a149                              // 00000000B058: D3D840CF 18000195
	v_cndmask_b32_e32 v207, 0, v207, vcc                       // 00000000B060: 019F9E80
	v_and_b32_e32 v207, v207, v206                             // 00000000B064: 279F9DCF
	v_accvgpr_write_b32 a149, v207                             // 00000000B068: D3D94095 180001CF
	s_mov_b32 s54, 0xc8                                        // 00000000B070: BEB600FF 000000C8
	v_add_i32 v205, s54, v204                                  // 00000000B078: D29C00CD 00039836
	v_cmp_lt_i32_e64 vcc, v205, 4                              // 00000000B080: D0C1006A 000109CD
	v_min_u32_e32 v205, 4, v205                                // 00000000B088: 1D9B9A84
	v_lshlrev_b32_e32 v205, 3, v205                            // 00000000B08C: 259B9A83
	v_lshrrev_b32_e64 v206, v205, -1                           // 00000000B090: D11000CE 000183CD
	v_accvgpr_read_b32 v207, a134                              // 00000000B098: D3D840CF 18000186
	v_cndmask_b32_e32 v207, 0, v207, vcc                       // 00000000B0A0: 019F9E80
	v_and_b32_e32 v207, v207, v206                             // 00000000B0A4: 279F9DCF
	v_accvgpr_write_b32 a134, v207                             // 00000000B0A8: D3D94086 180001CF
	v_accvgpr_read_b32 v207, a150                              // 00000000B0B0: D3D840CF 18000196
	v_cndmask_b32_e32 v207, 0, v207, vcc                       // 00000000B0B8: 019F9E80
	v_and_b32_e32 v207, v207, v206                             // 00000000B0BC: 279F9DCF
	v_accvgpr_write_b32 a150, v207                             // 00000000B0C0: D3D94096 180001CF
	s_mov_b32 s54, 0xcc                                        // 00000000B0C8: BEB600FF 000000CC
	v_add_i32 v205, s54, v204                                  // 00000000B0D0: D29C00CD 00039836
	v_cmp_lt_i32_e64 vcc, v205, 4                              // 00000000B0D8: D0C1006A 000109CD
	v_min_u32_e32 v205, 4, v205                                // 00000000B0E0: 1D9B9A84
	v_lshlrev_b32_e32 v205, 3, v205                            // 00000000B0E4: 259B9A83
	v_lshrrev_b32_e64 v206, v205, -1                           // 00000000B0E8: D11000CE 000183CD
	v_accvgpr_read_b32 v207, a135                              // 00000000B0F0: D3D840CF 18000187
	v_cndmask_b32_e32 v207, 0, v207, vcc                       // 00000000B0F8: 019F9E80
	v_and_b32_e32 v207, v207, v206                             // 00000000B0FC: 279F9DCF
	v_accvgpr_write_b32 a135, v207                             // 00000000B100: D3D94087 180001CF
	v_accvgpr_read_b32 v207, a151                              // 00000000B108: D3D840CF 18000197
	v_cndmask_b32_e32 v207, 0, v207, vcc                       // 00000000B110: 019F9E80
	v_and_b32_e32 v207, v207, v206                             // 00000000B114: 279F9DCF
	v_accvgpr_write_b32 a151, v207                             // 00000000B118: D3D94097 180001CF
	s_waitcnt lgkmcnt(11)                                      // 00000000B120: BF8CCB7F
	v_mfma_f32_16x16x32_fp8_fp8 v[100:103], a[120:121], v[4:5], 0// 00000000B124: D3F30064 0A020978
	v_mfma_f32_16x16x32_fp8_fp8 v[104:107], a[136:137], v[4:5], 0// 00000000B12C: D3F30068 0A020988
	v_mfma_f32_16x16x32_fp8_fp8 v[100:103], a[122:123], v[6:7], v[100:103]// 00000000B134: D3F30064 0D920D7A
	buffer_load_dwordx4 a[88:91], v231, s[16:19], 0 offen      // 00000000B13C: E05C1000 808458E7
	v_mfma_f32_16x16x32_fp8_fp8 v[104:107], a[138:139], v[6:7], v[104:107]// 00000000B144: D3F30068 0DA20D8A
	s_waitcnt lgkmcnt(10)                                      // 00000000B14C: BF8CCA7F
	v_mfma_f32_16x16x32_fp8_fp8 v[100:103], a[124:125], v[8:9], v[100:103]// 00000000B150: D3F30064 0D92117C
	v_mfma_f32_16x16x32_fp8_fp8 v[104:107], a[140:141], v[8:9], v[104:107]// 00000000B158: D3F30068 0DA2118C
	v_mfma_f32_16x16x32_fp8_fp8 v[100:103], a[126:127], v[10:11], v[100:103]// 00000000B160: D3F30064 0D92157E
	buffer_load_dwordx4 a[92:95], v232, s[16:19], 0 offen      // 00000000B168: E05C1000 80845CE8
	v_mfma_f32_16x16x32_fp8_fp8 v[104:107], a[142:143], v[10:11], v[104:107]// 00000000B170: D3F30068 0DA2158E
	s_waitcnt lgkmcnt(9)                                       // 00000000B178: BF8CC97F
	v_mfma_f32_16x16x32_fp8_fp8 v[100:103], a[128:129], v[12:13], v[100:103]// 00000000B17C: D3F30064 0D921980
	v_mfma_f32_16x16x32_fp8_fp8 v[104:107], a[144:145], v[12:13], v[104:107]// 00000000B184: D3F30068 0DA21990
	v_mfma_f32_16x16x32_fp8_fp8 v[100:103], a[130:131], v[14:15], v[100:103]// 00000000B18C: D3F30064 0D921D82
	buffer_load_dwordx4 a[96:99], v233, s[16:19], 0 offen      // 00000000B194: E05C1000 808460E9
	v_mfma_f32_16x16x32_fp8_fp8 v[104:107], a[146:147], v[14:15], v[104:107]// 00000000B19C: D3F30068 0DA21D92
	s_waitcnt lgkmcnt(8)                                       // 00000000B1A4: BF8CC87F
	v_mfma_f32_16x16x32_fp8_fp8 v[100:103], a[132:133], v[16:17], v[100:103]// 00000000B1A8: D3F30064 0D922184
	v_mfma_f32_16x16x32_fp8_fp8 v[104:107], a[148:149], v[16:17], v[104:107]// 00000000B1B0: D3F30068 0DA22194
	v_mfma_f32_16x16x32_fp8_fp8 v[100:103], a[134:135], v[18:19], v[100:103]// 00000000B1B8: D3F30064 0D922586
	buffer_load_dwordx4 a[100:103], v234, s[16:19], 0 offen    // 00000000B1C0: E05C1000 808464EA
	v_mfma_f32_16x16x32_fp8_fp8 v[104:107], a[150:151], v[18:19], v[104:107]// 00000000B1C8: D3F30068 0DA22596
	s_waitcnt lgkmcnt(7)                                       // 00000000B1D0: BF8CC77F
	v_mfma_f32_16x16x32_fp8_fp8 v[108:111], a[120:121], v[20:21], 0// 00000000B1D4: D3F3006C 0A022978
	v_mfma_f32_16x16x32_fp8_fp8 v[112:115], a[136:137], v[20:21], 0// 00000000B1DC: D3F30070 0A022988
	v_mfma_f32_16x16x32_fp8_fp8 v[108:111], a[122:123], v[22:23], v[108:111]// 00000000B1E4: D3F3006C 0DB22D7A
	buffer_load_dwordx4 a[104:107], v231, s[16:19], 0 offen offset:1024// 00000000B1EC: E05C1400 808468E7
	v_mfma_f32_16x16x32_fp8_fp8 v[112:115], a[138:139], v[22:23], v[112:115]// 00000000B1F4: D3F30070 0DC22D8A
	s_waitcnt lgkmcnt(6)                                       // 00000000B1FC: BF8CC67F
	v_mfma_f32_16x16x32_fp8_fp8 v[108:111], a[124:125], v[24:25], v[108:111]// 00000000B200: D3F3006C 0DB2317C
	v_mfma_f32_16x16x32_fp8_fp8 v[112:115], a[140:141], v[24:25], v[112:115]// 00000000B208: D3F30070 0DC2318C
	v_mfma_f32_16x16x32_fp8_fp8 v[108:111], a[126:127], v[26:27], v[108:111]// 00000000B210: D3F3006C 0DB2357E
	buffer_load_dwordx4 a[108:111], v232, s[16:19], 0 offen offset:1024// 00000000B218: E05C1400 80846CE8
	v_mfma_f32_16x16x32_fp8_fp8 v[112:115], a[142:143], v[26:27], v[112:115]// 00000000B220: D3F30070 0DC2358E
	s_waitcnt lgkmcnt(5)                                       // 00000000B228: BF8CC57F
	v_mfma_f32_16x16x32_fp8_fp8 v[108:111], a[128:129], v[28:29], v[108:111]// 00000000B22C: D3F3006C 0DB23980
	v_mfma_f32_16x16x32_fp8_fp8 v[112:115], a[144:145], v[28:29], v[112:115]// 00000000B234: D3F30070 0DC23990
	v_mfma_f32_16x16x32_fp8_fp8 v[108:111], a[130:131], v[30:31], v[108:111]// 00000000B23C: D3F3006C 0DB23D82
	buffer_load_dwordx4 a[112:115], v233, s[16:19], 0 offen offset:1024// 00000000B244: E05C1400 808470E9
	v_mfma_f32_16x16x32_fp8_fp8 v[112:115], a[146:147], v[30:31], v[112:115]// 00000000B24C: D3F30070 0DC23D92
	s_waitcnt lgkmcnt(4)                                       // 00000000B254: BF8CC47F
	v_mfma_f32_16x16x32_fp8_fp8 v[108:111], a[132:133], v[32:33], v[108:111]// 00000000B258: D3F3006C 0DB24184
	v_mfma_f32_16x16x32_fp8_fp8 v[112:115], a[148:149], v[32:33], v[112:115]// 00000000B260: D3F30070 0DC24194
	v_mfma_f32_16x16x32_fp8_fp8 v[108:111], a[134:135], v[34:35], v[108:111]// 00000000B268: D3F3006C 0DB24586
	buffer_load_dwordx4 a[116:119], v234, s[16:19], 0 offen offset:1024// 00000000B270: E05C1400 808474EA
	v_mfma_f32_16x16x32_fp8_fp8 v[112:115], a[150:151], v[34:35], v[112:115]// 00000000B278: D3F30070 0DC24596
	s_waitcnt lgkmcnt(3)                                       // 00000000B280: BF8CC37F
	v_mfma_f32_16x16x32_fp8_fp8 v[116:119], a[120:121], v[36:37], 0// 00000000B284: D3F30074 0A024978
	v_mfma_f32_16x16x32_fp8_fp8 v[120:123], a[136:137], v[36:37], 0// 00000000B28C: D3F30078 0A024988
	v_mfma_f32_16x16x32_fp8_fp8 v[116:119], a[122:123], v[38:39], v[116:119]// 00000000B294: D3F30074 0DD24D7A
	v_mfma_f32_16x16x32_fp8_fp8 v[120:123], a[138:139], v[38:39], v[120:123]// 00000000B29C: D3F30078 0DE24D8A
	s_waitcnt lgkmcnt(2)                                       // 00000000B2A4: BF8CC27F
	v_mfma_f32_16x16x32_fp8_fp8 v[116:119], a[124:125], v[40:41], v[116:119]// 00000000B2A8: D3F30074 0DD2517C
	v_mfma_f32_16x16x32_fp8_fp8 v[120:123], a[140:141], v[40:41], v[120:123]// 00000000B2B0: D3F30078 0DE2518C
	v_mfma_f32_16x16x32_fp8_fp8 v[116:119], a[126:127], v[42:43], v[116:119]// 00000000B2B8: D3F30074 0DD2557E
	v_mfma_f32_16x16x32_fp8_fp8 v[120:123], a[142:143], v[42:43], v[120:123]// 00000000B2C0: D3F30078 0DE2558E
	s_waitcnt lgkmcnt(1)                                       // 00000000B2C8: BF8CC17F
	v_mfma_f32_16x16x32_fp8_fp8 v[116:119], a[128:129], v[44:45], v[116:119]// 00000000B2CC: D3F30074 0DD25980
	v_mfma_f32_16x16x32_fp8_fp8 v[120:123], a[144:145], v[44:45], v[120:123]// 00000000B2D4: D3F30078 0DE25990
	v_mfma_f32_16x16x32_fp8_fp8 v[116:119], a[130:131], v[46:47], v[116:119]// 00000000B2DC: D3F30074 0DD25D82
	v_mfma_f32_16x16x32_fp8_fp8 v[120:123], a[146:147], v[46:47], v[120:123]// 00000000B2E4: D3F30078 0DE25D92
	s_waitcnt lgkmcnt(0)                                       // 00000000B2EC: BF8CC07F
	v_mfma_f32_16x16x32_fp8_fp8 v[116:119], a[132:133], v[48:49], v[116:119]// 00000000B2F0: D3F30074 0DD26184
	v_mfma_f32_16x16x32_fp8_fp8 v[120:123], a[148:149], v[48:49], v[120:123]// 00000000B2F8: D3F30078 0DE26194
	v_mfma_f32_16x16x32_fp8_fp8 v[116:119], a[134:135], v[50:51], v[116:119]// 00000000B300: D3F30074 0DD26586
	v_mfma_f32_16x16x32_fp8_fp8 v[120:123], a[150:151], v[50:51], v[120:123]// 00000000B308: D3F30078 0DE26596
	s_addk_i32 s64, 0x100                                      // 00000000B310: B7400100
	s_branch label_14B4                                        // 00000000B314: BF82F16E

000000000000b318 <label_2346>:
	v_pk_mul_f32 v[124:125], v[170:171], v[124:125]            // 00000000B318: D3B1407C 1802F9AA
	v_pk_mul_f32 v[126:127], v[170:171], v[126:127]            // 00000000B320: D3B1407E 1802FDAA
	v_pk_mul_f32 v[128:129], v[170:171], v[128:129]            // 00000000B328: D3B14080 180301AA
	v_pk_mul_f32 v[130:131], v[170:171], v[130:131]            // 00000000B330: D3B14082 180305AA
	v_pk_mul_f32 v[132:133], v[172:173], v[132:133]            // 00000000B338: D3B14084 180309AC
	v_pk_mul_f32 v[134:135], v[172:173], v[134:135]            // 00000000B340: D3B14086 18030DAC
	v_pk_mul_f32 v[136:137], v[172:173], v[136:137]            // 00000000B348: D3B14088 180311AC
	v_pk_mul_f32 v[138:139], v[172:173], v[138:139]            // 00000000B350: D3B1408A 180315AC
	v_pk_mul_f32 v[140:141], v[174:175], v[140:141]            // 00000000B358: D3B1408C 180319AE
	v_pk_mul_f32 v[142:143], v[174:175], v[142:143]            // 00000000B360: D3B1408E 18031DAE
	v_pk_mul_f32 v[144:145], v[174:175], v[144:145]            // 00000000B368: D3B14090 180321AE
	v_pk_mul_f32 v[146:147], v[174:175], v[146:147]            // 00000000B370: D3B14092 180325AE
	ds_bpermute_b32 v188, v208, v176                           // 00000000B378: D87E0000 BC00B0D0
	ds_bpermute_b32 v189, v209, v176                           // 00000000B380: D87E0000 BD00B0D1
	ds_bpermute_b32 v190, v210, v176                           // 00000000B388: D87E0000 BE00B0D2
	ds_bpermute_b32 v191, v208, v178                           // 00000000B390: D87E0000 BF00B2D0
	ds_bpermute_b32 v192, v209, v178                           // 00000000B398: D87E0000 C000B2D1
	ds_bpermute_b32 v193, v210, v178                           // 00000000B3A0: D87E0000 C100B2D2
	ds_bpermute_b32 v194, v208, v180                           // 00000000B3A8: D87E0000 C200B4D0
	ds_bpermute_b32 v195, v209, v180                           // 00000000B3B0: D87E0000 C300B4D1
	ds_bpermute_b32 v196, v210, v180                           // 00000000B3B8: D87E0000 C400B4D2
	s_waitcnt lgkmcnt(0)                                       // 00000000B3C0: BF8CC07F
	v_add_f32_e32 v176, v188, v176                             // 00000000B3C4: 036161BC
	v_add_f32_e32 v176, v189, v176                             // 00000000B3C8: 036161BD
	v_add_f32_e32 v176, v190, v176                             // 00000000B3CC: 036161BE
	v_add_f32_e32 v177, v191, v178                             // 00000000B3D0: 036365BF
	v_add_f32_e32 v177, v192, v177                             // 00000000B3D4: 036363C0
	v_add_f32_e32 v177, v193, v177                             // 00000000B3D8: 036363C1
	v_add_f32_e32 v178, v194, v180                             // 00000000B3DC: 036569C2
	v_add_f32_e32 v178, v195, v178                             // 00000000B3E0: 036565C3
	v_add_f32_e32 v178, v196, v178                             // 00000000B3E4: 036565C4
	ds_write_b128 v249, v[176:179]                             // 00000000B3E8: D9BE0000 0000B0F9
	v_pk_mul_f32 v[100:101], v[158:159], v[100:101]            // 00000000B3F0: D3B14064 1802C99E
	v_pk_mul_f32 v[102:103], v[158:159], v[102:103]            // 00000000B3F8: D3B14066 1802CD9E
	v_pk_mul_f32 v[104:105], v[158:159], v[104:105]            // 00000000B400: D3B14068 1802D19E
	v_pk_mul_f32 v[106:107], v[158:159], v[106:107]            // 00000000B408: D3B1406A 1802D59E
	v_pk_mul_f32 v[108:109], v[160:161], v[108:109]            // 00000000B410: D3B1406C 1802D9A0
	v_pk_mul_f32 v[110:111], v[160:161], v[110:111]            // 00000000B418: D3B1406E 1802DDA0
	v_pk_mul_f32 v[112:113], v[160:161], v[112:113]            // 00000000B420: D3B14070 1802E1A0
	v_pk_mul_f32 v[114:115], v[160:161], v[114:115]            // 00000000B428: D3B14072 1802E5A0
	v_pk_mul_f32 v[116:117], v[162:163], v[116:117]            // 00000000B430: D3B14074 1802E9A2
	v_pk_mul_f32 v[118:119], v[162:163], v[118:119]            // 00000000B438: D3B14076 1802EDA2
	v_pk_mul_f32 v[120:121], v[162:163], v[120:121]            // 00000000B440: D3B14078 1802F1A2
	v_pk_mul_f32 v[122:123], v[162:163], v[122:123]            // 00000000B448: D3B1407A 1802F5A2
	s_waitcnt lgkmcnt(0)                                       // 00000000B450: BF8CC07F
	s_barrier                                                  // 00000000B454: BF8A0000
	ds_read_b128 v[188:191], v250                              // 00000000B458: D9FE0000 BC0000FA
	ds_read_b128 v[192:195], v250 offset:256                   // 00000000B460: D9FE0100 C00000FA
	ds_read_b128 v[196:199], v250 offset:512                   // 00000000B468: D9FE0200 C40000FA
	ds_read_b128 v[200:203], v250 offset:768                   // 00000000B470: D9FE0300 C80000FA
	v_pk_add_f32 v[124:125], v[124:125], v[100:101]            // 00000000B478: D3B2407C 1802C97C
	v_pk_add_f32 v[126:127], v[126:127], v[102:103]            // 00000000B480: D3B2407E 1802CD7E
	v_pk_add_f32 v[128:129], v[128:129], v[104:105]            // 00000000B488: D3B24080 1802D180
	v_pk_add_f32 v[130:131], v[130:131], v[106:107]            // 00000000B490: D3B24082 1802D582
	v_pk_add_f32 v[132:133], v[132:133], v[108:109]            // 00000000B498: D3B24084 1802D984
	v_pk_add_f32 v[134:135], v[134:135], v[110:111]            // 00000000B4A0: D3B24086 1802DD86
	v_pk_add_f32 v[136:137], v[136:137], v[112:113]            // 00000000B4A8: D3B24088 1802E188
	v_pk_add_f32 v[138:139], v[138:139], v[114:115]            // 00000000B4B0: D3B2408A 1802E58A
	v_pk_add_f32 v[140:141], v[140:141], v[116:117]            // 00000000B4B8: D3B2408C 1802E98C
	v_pk_add_f32 v[142:143], v[142:143], v[118:119]            // 00000000B4C0: D3B2408E 1802ED8E
	v_pk_add_f32 v[144:145], v[144:145], v[120:121]            // 00000000B4C8: D3B24090 1802F190
	v_pk_add_f32 v[146:147], v[146:147], v[122:123]            // 00000000B4D0: D3B24092 1802F592
	s_waitcnt lgkmcnt(0)                                       // 00000000B4D8: BF8CC07F
	v_mov_b64_e32 v[176:177], 0                                // 00000000B4DC: 7F607080
	v_mov_b32_e32 v178, 0                                      // 00000000B4E0: 7F640280
	v_add_f32_e32 v176, v188, v176                             // 00000000B4E4: 036161BC
	v_add_f32_e32 v177, v189, v177                             // 00000000B4E8: 036363BD
	v_add_f32_e32 v178, v190, v178                             // 00000000B4EC: 036565BE
	v_add_f32_e32 v176, v192, v176                             // 00000000B4F0: 036161C0
	v_add_f32_e32 v177, v193, v177                             // 00000000B4F4: 036363C1
	v_add_f32_e32 v178, v194, v178                             // 00000000B4F8: 036565C2
	v_add_f32_e32 v176, v196, v176                             // 00000000B4FC: 036161C4
	v_add_f32_e32 v177, v197, v177                             // 00000000B500: 036363C5
	v_add_f32_e32 v178, v198, v178                             // 00000000B504: 036565C6
	v_add_f32_e32 v176, v200, v176                             // 00000000B508: 036161C8
	v_add_f32_e32 v177, v201, v177                             // 00000000B50C: 036363C9
	v_add_f32_e32 v178, v202, v178                             // 00000000B510: 036565CA
	v_rcp_f32_e32 v188, v176                                   // 00000000B514: 7F7845B0
	v_cmp_eq_u32_e64 s[54:55], 0, v176                         // 00000000B518: D0CA0036 00036080
	s_nop 0                                                    // 00000000B520: BF800000
	v_cndmask_b32_e64 v188, v188, 0, s[54:55]                  // 00000000B524: D10000BC 00D901BC
	v_rcp_f32_e32 v189, v177                                   // 00000000B52C: 7F7A45B1
	v_cmp_eq_u32_e64 s[54:55], 0, v177                         // 00000000B530: D0CA0036 00036280
	s_nop 0                                                    // 00000000B538: BF800000
	v_cndmask_b32_e64 v189, v189, 0, s[54:55]                  // 00000000B53C: D10000BD 00D901BD
	v_rcp_f32_e32 v190, v178                                   // 00000000B544: 7F7C45B2
	v_cmp_eq_u32_e64 s[54:55], 0, v178                         // 00000000B548: D0CA0036 00036480
	s_nop 0                                                    // 00000000B550: BF800000
	v_cndmask_b32_e64 v190, v190, 0, s[54:55]                  // 00000000B554: D10000BE 00D901BE
	v_mul_f32_e32 v124, v188, v124                             // 00000000B55C: 0AF8F9BC
	v_mul_f32_e32 v125, v188, v125                             // 00000000B560: 0AFAFBBC
	v_mul_f32_e32 v126, v188, v126                             // 00000000B564: 0AFCFDBC
	v_mul_f32_e32 v127, v188, v127                             // 00000000B568: 0AFEFFBC
	v_mul_f32_e32 v128, v188, v128                             // 00000000B56C: 0B0101BC
	v_mul_f32_e32 v129, v188, v129                             // 00000000B570: 0B0303BC
	v_mul_f32_e32 v130, v188, v130                             // 00000000B574: 0B0505BC
	v_mul_f32_e32 v131, v188, v131                             // 00000000B578: 0B0707BC
	v_mul_f32_e32 v132, v189, v132                             // 00000000B57C: 0B0909BD
	v_mul_f32_e32 v133, v189, v133                             // 00000000B580: 0B0B0BBD
	v_mul_f32_e32 v134, v189, v134                             // 00000000B584: 0B0D0DBD
	v_mul_f32_e32 v135, v189, v135                             // 00000000B588: 0B0F0FBD
	v_mul_f32_e32 v136, v189, v136                             // 00000000B58C: 0B1111BD
	v_mul_f32_e32 v137, v189, v137                             // 00000000B590: 0B1313BD
	v_mul_f32_e32 v138, v189, v138                             // 00000000B594: 0B1515BD
	v_mul_f32_e32 v139, v189, v139                             // 00000000B598: 0B1717BD
	v_mul_f32_e32 v140, v190, v140                             // 00000000B59C: 0B1919BE
	v_mul_f32_e32 v141, v190, v141                             // 00000000B5A0: 0B1B1BBE
	v_mul_f32_e32 v142, v190, v142                             // 00000000B5A4: 0B1D1DBE
	v_mul_f32_e32 v143, v190, v143                             // 00000000B5A8: 0B1F1FBE
	v_mul_f32_e32 v144, v190, v144                             // 00000000B5AC: 0B2121BE
	v_mul_f32_e32 v145, v190, v145                             // 00000000B5B0: 0B2323BE
	v_mul_f32_e32 v146, v190, v146                             // 00000000B5B4: 0B2525BE
	v_mul_f32_e32 v147, v190, v147                             // 00000000B5B8: 0B2727BE
	s_cmp_eq_i32 s73, -1                                       // 00000000B5BC: BF00C149
	s_cbranch_scc0 label_24B7                                  // 00000000B5C0: BF8400C6
	v_cmp_u_f32_e64 s[98:99], v124, v124                       // 00000000B5C4: D0480062 0002F97C
	v_add3_u32 v214, v124, v217, 1                             // 00000000B5CC: D1FF00D6 0207B37C
	v_cndmask_b32_e64 v204, v214, v216, s[98:99]               // 00000000B5D4: D10000CC 018BB1D6
	v_cmp_u_f32_e64 s[98:99], v125, v125                       // 00000000B5DC: D0480062 0002FB7D
	v_add3_u32 v214, v125, v217, 1                             // 00000000B5E4: D1FF00D6 0207B37D
	v_cndmask_b32_e64 v205, v214, v216, s[98:99]               // 00000000B5EC: D10000CD 018BB1D6
	v_perm_b32 v124, v205, v204, s56                           // 00000000B5F4: D1ED007C 00E399CD
	v_cmp_u_f32_e64 s[98:99], v126, v126                       // 00000000B5FC: D0480062 0002FD7E
	v_add3_u32 v214, v126, v217, 1                             // 00000000B604: D1FF00D6 0207B37E
	v_cndmask_b32_e64 v204, v214, v216, s[98:99]               // 00000000B60C: D10000CC 018BB1D6
	v_cmp_u_f32_e64 s[98:99], v127, v127                       // 00000000B614: D0480062 0002FF7F
	v_add3_u32 v214, v127, v217, 1                             // 00000000B61C: D1FF00D6 0207B37F
	v_cndmask_b32_e64 v205, v214, v216, s[98:99]               // 00000000B624: D10000CD 018BB1D6
	v_perm_b32 v125, v205, v204, s56                           // 00000000B62C: D1ED007D 00E399CD
	v_cmp_u_f32_e64 s[98:99], v128, v128                       // 00000000B634: D0480062 00030180
	v_add3_u32 v214, v128, v217, 1                             // 00000000B63C: D1FF00D6 0207B380
	v_cndmask_b32_e64 v204, v214, v216, s[98:99]               // 00000000B644: D10000CC 018BB1D6
	v_cmp_u_f32_e64 s[98:99], v129, v129                       // 00000000B64C: D0480062 00030381
	v_add3_u32 v214, v129, v217, 1                             // 00000000B654: D1FF00D6 0207B381
	v_cndmask_b32_e64 v205, v214, v216, s[98:99]               // 00000000B65C: D10000CD 018BB1D6
	v_perm_b32 v126, v205, v204, s56                           // 00000000B664: D1ED007E 00E399CD
	v_cmp_u_f32_e64 s[98:99], v130, v130                       // 00000000B66C: D0480062 00030582
	v_add3_u32 v214, v130, v217, 1                             // 00000000B674: D1FF00D6 0207B382
	v_cndmask_b32_e64 v204, v214, v216, s[98:99]               // 00000000B67C: D10000CC 018BB1D6
	v_cmp_u_f32_e64 s[98:99], v131, v131                       // 00000000B684: D0480062 00030783
	v_add3_u32 v214, v131, v217, 1                             // 00000000B68C: D1FF00D6 0207B383
	v_cndmask_b32_e64 v205, v214, v216, s[98:99]               // 00000000B694: D10000CD 018BB1D6
	v_perm_b32 v127, v205, v204, s56                           // 00000000B69C: D1ED007F 00E399CD
	v_cmp_u_f32_e64 s[98:99], v132, v132                       // 00000000B6A4: D0480062 00030984
	v_add3_u32 v214, v132, v217, 1                             // 00000000B6AC: D1FF00D6 0207B384
	v_cndmask_b32_e64 v204, v214, v216, s[98:99]               // 00000000B6B4: D10000CC 018BB1D6
	v_cmp_u_f32_e64 s[98:99], v133, v133                       // 00000000B6BC: D0480062 00030B85
	v_add3_u32 v214, v133, v217, 1                             // 00000000B6C4: D1FF00D6 0207B385
	v_cndmask_b32_e64 v205, v214, v216, s[98:99]               // 00000000B6CC: D10000CD 018BB1D6
	v_perm_b32 v128, v205, v204, s56                           // 00000000B6D4: D1ED0080 00E399CD
	v_cmp_u_f32_e64 s[98:99], v134, v134                       // 00000000B6DC: D0480062 00030D86
	v_add3_u32 v214, v134, v217, 1                             // 00000000B6E4: D1FF00D6 0207B386
	v_cndmask_b32_e64 v204, v214, v216, s[98:99]               // 00000000B6EC: D10000CC 018BB1D6
	v_cmp_u_f32_e64 s[98:99], v135, v135                       // 00000000B6F4: D0480062 00030F87
	v_add3_u32 v214, v135, v217, 1                             // 00000000B6FC: D1FF00D6 0207B387
	v_cndmask_b32_e64 v205, v214, v216, s[98:99]               // 00000000B704: D10000CD 018BB1D6
	v_perm_b32 v129, v205, v204, s56                           // 00000000B70C: D1ED0081 00E399CD
	v_cmp_u_f32_e64 s[98:99], v136, v136                       // 00000000B714: D0480062 00031188
	v_add3_u32 v214, v136, v217, 1                             // 00000000B71C: D1FF00D6 0207B388
	v_cndmask_b32_e64 v204, v214, v216, s[98:99]               // 00000000B724: D10000CC 018BB1D6
	v_cmp_u_f32_e64 s[98:99], v137, v137                       // 00000000B72C: D0480062 00031389
	v_add3_u32 v214, v137, v217, 1                             // 00000000B734: D1FF00D6 0207B389
	v_cndmask_b32_e64 v205, v214, v216, s[98:99]               // 00000000B73C: D10000CD 018BB1D6
	v_perm_b32 v130, v205, v204, s56                           // 00000000B744: D1ED0082 00E399CD
	v_cmp_u_f32_e64 s[98:99], v138, v138                       // 00000000B74C: D0480062 0003158A
	v_add3_u32 v214, v138, v217, 1                             // 00000000B754: D1FF00D6 0207B38A
	v_cndmask_b32_e64 v204, v214, v216, s[98:99]               // 00000000B75C: D10000CC 018BB1D6
	v_cmp_u_f32_e64 s[98:99], v139, v139                       // 00000000B764: D0480062 0003178B
	v_add3_u32 v214, v139, v217, 1                             // 00000000B76C: D1FF00D6 0207B38B
	v_cndmask_b32_e64 v205, v214, v216, s[98:99]               // 00000000B774: D10000CD 018BB1D6
	v_perm_b32 v131, v205, v204, s56                           // 00000000B77C: D1ED0083 00E399CD
	v_cmp_u_f32_e64 s[98:99], v140, v140                       // 00000000B784: D0480062 0003198C
	v_add3_u32 v214, v140, v217, 1                             // 00000000B78C: D1FF00D6 0207B38C
	v_cndmask_b32_e64 v204, v214, v216, s[98:99]               // 00000000B794: D10000CC 018BB1D6
	v_cmp_u_f32_e64 s[98:99], v141, v141                       // 00000000B79C: D0480062 00031B8D
	v_add3_u32 v214, v141, v217, 1                             // 00000000B7A4: D1FF00D6 0207B38D
	v_cndmask_b32_e64 v205, v214, v216, s[98:99]               // 00000000B7AC: D10000CD 018BB1D6
	v_perm_b32 v132, v205, v204, s56                           // 00000000B7B4: D1ED0084 00E399CD
	v_cmp_u_f32_e64 s[98:99], v142, v142                       // 00000000B7BC: D0480062 00031D8E
	v_add3_u32 v214, v142, v217, 1                             // 00000000B7C4: D1FF00D6 0207B38E
	v_cndmask_b32_e64 v204, v214, v216, s[98:99]               // 00000000B7CC: D10000CC 018BB1D6
	v_cmp_u_f32_e64 s[98:99], v143, v143                       // 00000000B7D4: D0480062 00031F8F
	v_add3_u32 v214, v143, v217, 1                             // 00000000B7DC: D1FF00D6 0207B38F
	v_cndmask_b32_e64 v205, v214, v216, s[98:99]               // 00000000B7E4: D10000CD 018BB1D6
	v_perm_b32 v133, v205, v204, s56                           // 00000000B7EC: D1ED0085 00E399CD
	v_cmp_u_f32_e64 s[98:99], v144, v144                       // 00000000B7F4: D0480062 00032190
	v_add3_u32 v214, v144, v217, 1                             // 00000000B7FC: D1FF00D6 0207B390
	v_cndmask_b32_e64 v204, v214, v216, s[98:99]               // 00000000B804: D10000CC 018BB1D6
	v_cmp_u_f32_e64 s[98:99], v145, v145                       // 00000000B80C: D0480062 00032391
	v_add3_u32 v214, v145, v217, 1                             // 00000000B814: D1FF00D6 0207B391
	v_cndmask_b32_e64 v205, v214, v216, s[98:99]               // 00000000B81C: D10000CD 018BB1D6
	v_perm_b32 v134, v205, v204, s56                           // 00000000B824: D1ED0086 00E399CD
	v_cmp_u_f32_e64 s[98:99], v146, v146                       // 00000000B82C: D0480062 00032592
	v_add3_u32 v214, v146, v217, 1                             // 00000000B834: D1FF00D6 0207B392
	v_cndmask_b32_e64 v204, v214, v216, s[98:99]               // 00000000B83C: D10000CC 018BB1D6
	v_cmp_u_f32_e64 s[98:99], v147, v147                       // 00000000B844: D0480062 00032793
	v_add3_u32 v214, v147, v217, 1                             // 00000000B84C: D1FF00D6 0207B393
	v_cndmask_b32_e64 v205, v214, v216, s[98:99]               // 00000000B854: D10000CD 018BB1D6
	v_perm_b32 v135, v205, v204, s56                           // 00000000B85C: D1ED0087 00E399CD
	ds_write_b64 v247, v[124:125] offset:8192                  // 00000000B864: D89A2000 00007CF7
	ds_write_b64 v247, v[126:127] offset:10496                 // 00000000B86C: D89A2900 00007EF7
	ds_write_b64 v247, v[128:129] offset:12800                 // 00000000B874: D89A3200 000080F7
	ds_write_b64 v247, v[130:131] offset:15104                 // 00000000B87C: D89A3B00 000082F7
	ds_write_b64 v247, v[132:133] offset:17408                 // 00000000B884: D89A4400 000084F7
	ds_write_b64 v247, v[134:135] offset:19712                 // 00000000B88C: D89A4D00 000086F7
	s_waitcnt lgkmcnt(0)                                       // 00000000B894: BF8CC07F
	s_barrier                                                  // 00000000B898: BF8A0000
	ds_read_b128 v[124:127], v248 offset:8192                  // 00000000B89C: D9FE2000 7C0000F8
	ds_read_b128 v[128:131], v248 offset:12800                 // 00000000B8A4: D9FE3200 800000F8
	ds_read_b128 v[132:135], v248 offset:17408                 // 00000000B8AC: D9FE4400 840000F8
	s_waitcnt lgkmcnt(2)                                       // 00000000B8B4: BF8CC27F
	buffer_store_dwordx4 v[124:127], v226, s[4:7], 0 offen     // 00000000B8B8: E07C1000 80017CE2
	s_waitcnt lgkmcnt(1)                                       // 00000000B8C0: BF8CC17F
	buffer_store_dwordx4 v[128:131], v227, s[4:7], 0 offen     // 00000000B8C4: E07C1000 800180E3
	s_waitcnt lgkmcnt(0)                                       // 00000000B8CC: BF8CC07F
	buffer_store_dwordx4 v[132:135], v228, s[4:7], 0 offen     // 00000000B8D0: E07C1000 800184E4
	s_branch label_24E3                                        // 00000000B8D8: BF82002C

000000000000b8dc <label_24B7>:
	v_rcp_f32_e32 v207, 0x3fb8aa3b                             // 00000000B8DC: 7F9E44FF 3FB8AA3B
	v_log_f32_e32 v204, v176                                   // 00000000B8E4: 7F9843B0
	v_mul_f32_e64 v205, v164, s46                              // 00000000B8E8: D10500CD 00005DA4
	v_add_f32_e32 v211, v204, v205                             // 00000000B8F0: 03A79BCC
	v_mul_f32_e32 v211, v211, v207                             // 00000000B8F4: 0BA79FD3
	buffer_store_dword v211, v237, s[32:35], 0 offen           // 00000000B8F8: E0701000 8008D3ED
	v_log_f32_e32 v204, v177                                   // 00000000B900: 7F9843B1
	v_mul_f32_e64 v205, v165, s46                              // 00000000B904: D10500CD 00005DA5
	v_add_f32_e32 v212, v204, v205                             // 00000000B90C: 03A99BCC
	v_mul_f32_e32 v212, v212, v207                             // 00000000B910: 0BA99FD4
	buffer_store_dword v212, v238, s[32:35], 0 offen           // 00000000B914: E0701000 8008D4EE
	v_log_f32_e32 v204, v178                                   // 00000000B91C: 7F9843B2
	v_mul_f32_e64 v205, v166, s46                              // 00000000B920: D10500CD 00005DA6
	v_add_f32_e32 v213, v204, v205                             // 00000000B928: 03AB9BCC
	v_mul_f32_e32 v213, v213, v207                             // 00000000B92C: 0BAB9FD5
	buffer_store_dword v213, v239, s[32:35], 0 offen           // 00000000B930: E0701000 8008D5EF
	v_add_u32_e32 v204, 0, v240                                // 00000000B938: 6999E080
	buffer_store_dwordx4 v[124:127], v204, s[28:31], 0 offen   // 00000000B93C: E07C1000 80077CCC
	v_add_u32_e32 v204, 0x100, v240                            // 00000000B944: 6999E0FF 00000100
	buffer_store_dwordx4 v[128:131], v204, s[28:31], 0 offen   // 00000000B94C: E07C1000 800780CC
	v_add_u32_e32 v204, 0, v241                                // 00000000B954: 6999E280
	buffer_store_dwordx4 v[132:135], v204, s[28:31], 0 offen   // 00000000B958: E07C1000 800784CC
	v_add_u32_e32 v204, 0x100, v241                            // 00000000B960: 6999E2FF 00000100
	buffer_store_dwordx4 v[136:139], v204, s[28:31], 0 offen   // 00000000B968: E07C1000 800788CC
	v_add_u32_e32 v204, 0, v242                                // 00000000B970: 6999E480
	buffer_store_dwordx4 v[140:143], v204, s[28:31], 0 offen   // 00000000B974: E07C1000 80078CCC
	v_add_u32_e32 v204, 0x100, v242                            // 00000000B97C: 6999E4FF 00000100
	buffer_store_dwordx4 v[144:147], v204, s[28:31], 0 offen   // 00000000B984: E07C1000 800790CC

000000000000b98c <label_24E3>:
	s_addk_i32 s80, 0x1                                        // 00000000B98C: B7500001
	s_branch label_0206                                        // 00000000B990: BF82DD21

000000000000b994 <label_24E5>:
	s_waitcnt vmcnt(0) expcnt(0) lgkmcnt(0)                    // 00000000B994: BF8C0000
	s_endpgm                                                   // 00000000B998: BF810000
